;; amdgpu-corpus repo=ROCm/aiter kind=harvested arch=n/a opt=n/a

/root/src/amdgpu-assembly/repos/ROCm__aiter/hsa/gfx942/pa/pa_bf16_pertokenFp8_gqa10_1tg_4w_qlen4_msk1.co:	file format elf64-amdgpu

Disassembly of section .text:

0000000000002100 <_ZN5aiter43pa_bf16_pertokenFp8_gqa10_1tg_4w_qlen4_msk1E>:
	s_and_b32 s1, s1, 0xffff                                   // 000000002100: 8601FF01 0000FFFF
	s_load_dwordx2 s[4:5], s[0:1], 0x0                         // 000000002108: C0060100 00000000
	s_load_dwordx2 s[8:9], s[0:1], 0x10                        // 000000002110: C0060200 00000010
	s_load_dwordx2 s[12:13], s[0:1], 0x20                      // 000000002118: C0060300 00000020
	s_load_dwordx2 s[16:17], s[0:1], 0x30                      // 000000002120: C0060400 00000030
	s_load_dwordx2 s[20:21], s[0:1], 0x40                      // 000000002128: C0060500 00000040
	s_load_dwordx2 s[24:25], s[0:1], 0x50                      // 000000002130: C0060600 00000050
	s_load_dwordx2 s[28:29], s[0:1], 0x60                      // 000000002138: C0060700 00000060
	s_load_dwordx2 s[32:33], s[0:1], 0x70                      // 000000002140: C0060800 00000070
	s_load_dword s51, s[0:1], 0x80                             // 000000002148: C0020CC0 00000080
	s_load_dword s52, s[0:1], 0x90                             // 000000002150: C0020D00 00000090
	s_load_dword s53, s[0:1], 0xa0                             // 000000002158: C0020D40 000000A0
	s_load_dword s54, s[0:1], 0xb0                             // 000000002160: C0020D80 000000B0
	s_load_dword s56, s[0:1], 0xc0                             // 000000002168: C0020E00 000000C0
	s_load_dword s57, s[0:1], 0xd0                             // 000000002170: C0020E40 000000D0
	v_lshrrev_b32_e32 v1, 10, v0                               // 000000002178: 2002008A
	v_lshrrev_b32_e32 v2, 10, v1                               // 00000000217C: 2004028A
	v_and_b32_e32 v2, 0x3ff, v2                                // 000000002180: 260404FF 000003FF
	v_and_b32_e32 v1, 0x3ff, v1                                // 000000002188: 260202FF 000003FF
	v_and_b32_e32 v0, 0x3ff, v0                                // 000000002190: 260000FF 000003FF
	v_lshrrev_b32_e32 v3, 6, v0                                // 000000002198: 20060086
	v_and_b32_e32 v0, 63, v0                                   // 00000000219C: 260000BF
	s_mov_b32 s47, s2                                          // 0000000021A0: BEAF0002
	s_mov_b32 s48, s3                                          // 0000000021A4: BEB00003
	v_readfirstlane_b32 s46, v3                                // 0000000021A8: 7E5C0503
	s_cmp_lt_u32 s46, 2                                        // 0000000021AC: BF0A822E
	s_cselect_b32 s92, -1, 0                                   // 0000000021B0: 855C80C1
	s_mov_b32 s88, 0xff00ff00                                  // 0000000021B4: BED800FF FF00FF00
	s_mov_b32 s89, 0xff00ff00                                  // 0000000021BC: BED900FF FF00FF00
	s_mov_b32 s90, 0xf0f0f0f0                                  // 0000000021C4: BEDA00FF F0F0F0F0
	s_mov_b32 s91, 0xf0f0f0f0                                  // 0000000021CC: BEDB00FF F0F0F0F0
	s_mov_b32 s42, 0x7060302                                   // 0000000021D4: BEAA00FF 07060302
	s_mov_b32 s43, 0x400                                       // 0000000021DC: BEAB00FF 00000400
	s_mov_b32 s44, 0x40100                                     // 0000000021E4: BEAC00FF 00040100
	s_mov_b32 s45, 0x4020100                                   // 0000000021EC: BEAD00FF 04020100
	v_mov_b32_e32 v216, 0xffff0000                             // 0000000021F4: 7FB002FF FFFF0000
	v_mov_b32_e32 v217, 0x7fff0000                             // 0000000021FC: 7FB202FF 7FFF0000
	v_mov_b32_e32 v218, 0x7fff                                 // 000000002204: 7FB402FF 00007FFF
	v_mov_b32_e32 v224, -1                                     // 00000000220C: 7FC002C1
	v_mov_b32_dpp v224, v224 row_shl:8 row_mask:0xf bank_mask:0xf bound_ctrl:1// 000000002210: 7FC002FA FF0908E0
	v_mov_b32_e32 v225, 0xff800000                             // 000000002218: 7FC202FF FF800000
	v_mov_b32_e32 v194, 0xff800000                             // 000000002220: 7F8402FF FF800000
	v_mov_b64_e32 v[200:201], 0                                // 000000002228: 7F907080
	v_mov_b64_e32 v[206:207], 0                                // 00000000222C: 7F9C7080
	v_mov_b64_e32 v[158:159], 0                                // 000000002230: 7F3C7080
	v_mov_b32_e32 v195, 0xff800000                             // 000000002234: 7F8602FF FF800000
	v_mov_b64_e32 v[202:203], 0                                // 00000000223C: 7F947080
	v_mov_b64_e32 v[208:209], 0                                // 000000002240: 7FA07080
	v_mov_b64_e32 v[160:161], 0                                // 000000002244: 7F407080
	v_mov_b32_e32 v196, 0xff800000                             // 000000002248: 7F8802FF FF800000
	v_mov_b64_e32 v[204:205], 0                                // 000000002250: 7F987080
	v_mov_b64_e32 v[210:211], 0                                // 000000002254: 7FA47080
	v_mov_b64_e32 v[162:163], 0                                // 000000002258: 7F447080
	v_mov_b32_e32 v124, 0                                      // 00000000225C: 7EF80280
	v_mov_b32_e32 v100, 0                                      // 000000002260: 7EC80280
	v_mov_b32_e32 v125, 0                                      // 000000002264: 7EFA0280
	v_mov_b32_e32 v101, 0                                      // 000000002268: 7ECA0280
	v_mov_b32_e32 v126, 0                                      // 00000000226C: 7EFC0280
	v_mov_b32_e32 v102, 0                                      // 000000002270: 7ECC0280
	v_mov_b32_e32 v127, 0                                      // 000000002274: 7EFE0280
	v_mov_b32_e32 v103, 0                                      // 000000002278: 7ECE0280
	v_mov_b32_e32 v128, 0                                      // 00000000227C: 7F000280
	v_mov_b32_e32 v104, 0                                      // 000000002280: 7ED00280
	v_mov_b32_e32 v129, 0                                      // 000000002284: 7F020280
	v_mov_b32_e32 v105, 0                                      // 000000002288: 7ED20280
	v_mov_b32_e32 v130, 0                                      // 00000000228C: 7F040280
	v_mov_b32_e32 v106, 0                                      // 000000002290: 7ED40280
	v_mov_b32_e32 v131, 0                                      // 000000002294: 7F060280
	v_mov_b32_e32 v107, 0                                      // 000000002298: 7ED60280
	v_mov_b32_e32 v132, 0                                      // 00000000229C: 7F080280
	v_mov_b32_e32 v108, 0                                      // 0000000022A0: 7ED80280
	v_mov_b32_e32 v133, 0                                      // 0000000022A4: 7F0A0280
	v_mov_b32_e32 v109, 0                                      // 0000000022A8: 7EDA0280
	v_mov_b32_e32 v134, 0                                      // 0000000022AC: 7F0C0280
	v_mov_b32_e32 v110, 0                                      // 0000000022B0: 7EDC0280
	v_mov_b32_e32 v135, 0                                      // 0000000022B4: 7F0E0280
	v_mov_b32_e32 v111, 0                                      // 0000000022B8: 7EDE0280
	v_mov_b32_e32 v136, 0                                      // 0000000022BC: 7F100280
	v_mov_b32_e32 v112, 0                                      // 0000000022C0: 7EE00280
	v_mov_b32_e32 v137, 0                                      // 0000000022C4: 7F120280
	v_mov_b32_e32 v113, 0                                      // 0000000022C8: 7EE20280
	v_mov_b32_e32 v138, 0                                      // 0000000022CC: 7F140280
	v_mov_b32_e32 v114, 0                                      // 0000000022D0: 7EE40280
	v_mov_b32_e32 v139, 0                                      // 0000000022D4: 7F160280
	v_mov_b32_e32 v115, 0                                      // 0000000022D8: 7EE60280
	v_mov_b32_e32 v140, 0                                      // 0000000022DC: 7F180280
	v_mov_b32_e32 v116, 0                                      // 0000000022E0: 7EE80280
	v_mov_b32_e32 v141, 0                                      // 0000000022E4: 7F1A0280
	v_mov_b32_e32 v117, 0                                      // 0000000022E8: 7EEA0280
	v_mov_b32_e32 v142, 0                                      // 0000000022EC: 7F1C0280
	v_mov_b32_e32 v118, 0                                      // 0000000022F0: 7EEC0280
	v_mov_b32_e32 v143, 0                                      // 0000000022F4: 7F1E0280
	v_mov_b32_e32 v119, 0                                      // 0000000022F8: 7EEE0280
	v_mov_b32_e32 v144, 0                                      // 0000000022FC: 7F200280
	v_mov_b32_e32 v120, 0                                      // 000000002300: 7EF00280
	v_mov_b32_e32 v145, 0                                      // 000000002304: 7F220280
	v_mov_b32_e32 v121, 0                                      // 000000002308: 7EF20280
	v_mov_b32_e32 v146, 0                                      // 00000000230C: 7F240280
	v_mov_b32_e32 v122, 0                                      // 000000002310: 7EF40280
	v_mov_b32_e32 v147, 0                                      // 000000002314: 7F260280
	v_mov_b32_e32 v123, 0                                      // 000000002318: 7EF60280
	s_waitcnt lgkmcnt(0)                                       // 00000000231C: BF8CC07F
	s_lshl_b32 s40, s48, 2                                     // 000000002320: 8E288230
	s_and_b32 s25, s25, 0xffff                                 // 000000002324: 8619FF19 0000FFFF
	s_add_u32 s24, s24, s40                                    // 00000000232C: 80182818
	s_addc_u32 s25, s25, 0                                     // 000000002330: 82198019
	s_load_dword s59, s[24:25], 0x0                            // 000000002334: C0020ECC 00000000
	s_mul_i32 s40, s48, s52                                    // 00000000233C: 92283430
	s_lshl_b32 s40, s40, 2                                     // 000000002340: 8E288228
	s_and_b32 s21, s21, 0xffff                                 // 000000002344: 8615FF15 0000FFFF
	s_add_u32 s20, s20, s40                                    // 00000000234C: 80142814
	s_addc_u32 s21, s21, 0                                     // 000000002350: 82158015
	s_load_dword s61, s[20:21], 0x0                            // 000000002354: C0020F4A 00000000
	s_mov_b32 s10, 0x80000000                                  // 00000000235C: BE8A00FF 80000000
	s_mov_b32 s11, 0x20000                                     // 000000002364: BE8B00FF 00020000
	s_and_b32 s9, s9, 0xffff                                   // 00000000236C: 8609FF09 0000FFFF
	s_or_b32 s9, s9, 0                                         // 000000002374: 87098009
	s_mov_b32 s6, 0x80000000                                   // 000000002378: BE8600FF 80000000
	s_mov_b32 s7, 0x20000                                      // 000000002380: BE8700FF 00020000
	s_and_b32 s5, s5, 0xffff                                   // 000000002388: 8605FF05 0000FFFF
	s_or_b32 s5, s5, 0                                         // 000000002390: 87058005
	s_mul_i32 s55, s54, 4                                      // 000000002394: 92378436
	s_mul_i32 s40, s48, s55                                    // 000000002398: 92283730
	s_mul_i32 s41, s47, 0xa00                                  // 00000000239C: 9229FF2F 00000A00
	s_add_u32 s40, s40, s41                                    // 0000000023A4: 80282928
	s_mul_i32 s41, s54, 3                                      // 0000000023A8: 92298336
	s_add_u32 s41, s41, 0xa00                                  // 0000000023AC: 8029FF29 00000A00
	s_add_u32 s8, s8, s40                                      // 0000000023B4: 80082808
	s_addc_u32 s9, s9, 0                                       // 0000000023B8: 82098009
	s_mov_b32 s10, s41                                         // 0000000023BC: BE8A0029
	s_mul_i32 s67, s53, 0xa00                                  // 0000000023C0: 9243FF35 00000A00
	s_mul_i32 s40, 4, s67                                      // 0000000023C8: 92284384
	s_mul_i32 s40, s40, s48                                    // 0000000023CC: 92283028
	s_mul_i32 s41, s47, 0xa00                                  // 0000000023D0: 9229FF2F 00000A00
	s_add_u32 s40, s40, s41                                    // 0000000023D8: 80282928
	s_mul_i32 s41, s67, 3                                      // 0000000023DC: 92298343
	s_add_u32 s41, s41, 0xa00                                  // 0000000023E0: 8029FF29 00000A00
	s_add_u32 s4, s4, s40                                      // 0000000023E8: 80042804
	s_addc_u32 s5, s5, 0                                       // 0000000023EC: 82058005
	s_mov_b32 s6, s41                                          // 0000000023F0: BE860029
	v_and_b32_e32 v171, 15, v0                                 // 0000000023F4: 2756008F
	v_lshlrev_b32_e32 v171, 4, v171                            // 0000000023F8: 25575684
	s_lshl_b32 s40, s46, 2                                     // 0000000023FC: 8E28822E
	v_lshrrev_b32_e32 v168, 4, v0                              // 000000002400: 21500084
	v_add_u32_e32 v168, s40, v168                              // 000000002404: 69515028
	v_add_u32_e32 v169, 16, v168                               // 000000002408: 69535090
	v_add_u32_e32 v170, 16, v169                               // 00000000240C: 69555290
	v_mul_u32_u24_e32 v172, 13, v168                           // 000000002410: 1159508D
	v_lshrrev_b32_e32 v172, 7, v172                            // 000000002414: 21595887
	v_mul_u32_u24_e32 v173, 10, v172                           // 000000002418: 115B588A
	v_sub_u32_e32 v173, v168, v173                             // 00000000241C: 6B5B5BA8
	v_mul_u32_u24_e32 v173, 0x100, v173                        // 000000002420: 115B5AFF 00000100
	v_mul_u32_u24_e32 v226, s54, v172                          // 000000002428: 11C55836
	v_add3_u32 v226, v173, v226, v171                          // 00000000242C: D1FF00E2 06AFC5AD
	v_mul_u32_u24_e32 v229, s67, v172                          // 000000002434: 11CB5843
	v_add3_u32 v229, v173, v229, v171                          // 000000002438: D1FF00E5 06AFCBAD
	v_mul_u32_u24_e32 v172, 13, v169                           // 000000002440: 1159528D
	v_lshrrev_b32_e32 v172, 7, v172                            // 000000002444: 21595887
	v_mul_u32_u24_e32 v173, 10, v172                           // 000000002448: 115B588A
	v_sub_u32_e32 v173, v169, v173                             // 00000000244C: 6B5B5BA9
	v_mul_u32_u24_e32 v173, 0x100, v173                        // 000000002450: 115B5AFF 00000100
	v_mul_u32_u24_e32 v227, s54, v172                          // 000000002458: 11C75836
	v_add3_u32 v227, v173, v227, v171                          // 00000000245C: D1FF00E3 06AFC7AD
	v_mul_u32_u24_e32 v230, s67, v172                          // 000000002464: 11CD5843
	v_add3_u32 v230, v173, v230, v171                          // 000000002468: D1FF00E6 06AFCDAD
	v_mul_u32_u24_e32 v172, 13, v170                           // 000000002470: 1159548D
	v_lshrrev_b32_e32 v172, 7, v172                            // 000000002474: 21595887
	v_mul_u32_u24_e32 v173, 10, v172                           // 000000002478: 115B588A
	v_sub_u32_e32 v173, v170, v173                             // 00000000247C: 6B5B5BAA
	v_mul_u32_u24_e32 v173, 0x100, v173                        // 000000002480: 115B5AFF 00000100
	v_mul_u32_u24_e32 v228, s54, v172                          // 000000002488: 11C95836
	v_add3_u32 v228, v173, v228, v171                          // 00000000248C: D1FF00E4 06AFC9AD
	v_mul_u32_u24_e32 v231, s67, v172                          // 000000002494: 11CF5843
	v_add3_u32 v231, v173, v231, v171                          // 000000002498: D1FF00E7 06AFCFAD
	s_mul_i32 s40, s46, 64                                     // 0000000024A0: 9228C02E
	v_and_b32_e32 v168, 15, v0                                 // 0000000024A4: 2750008F
	v_mul_i32_i24_e32 v168, 0x100, v168                        // 0000000024A8: 0D5150FF 00000100
	v_lshrrev_b32_e32 v169, 4, v0                              // 0000000024B0: 21520084
	v_mul_i32_i24_e32 v169, 16, v169                           // 0000000024B4: 0D535290
	v_add3_u32 v240, v168, v169, s40                           // 0000000024B8: D1FF00F0 00A353A8
	v_and_b32_e32 v242, 15, v0                                 // 0000000024C0: 27E4008F
	v_mul_i32_i24_e32 v242, 16, v242                           // 0000000024C4: 0DE5E490
	s_mul_i32 s40, s46, 0x240                                  // 0000000024C8: 9228FF2E 00000240
	v_lshrrev_b32_e32 v168, 4, v0                              // 0000000024D0: 21500084
	v_lshlrev_b32_e32 v168, 7, v168                            // 0000000024D4: 25515087
	v_lshrrev_b32_e32 v169, 5, v0                              // 0000000024D8: 21520085
	v_lshlrev_b32_e32 v169, 5, v169                            // 0000000024DC: 25535285
	v_and_b32_e32 v170, 15, v0                                 // 0000000024E0: 2754008F
	v_lshlrev_b32_e32 v170, 3, v170                            // 0000000024E4: 25555483
	v_add3_u32 v168, v168, v169, v170                          // 0000000024E8: D1FF00A8 06AB53A8
	v_add_u32_e32 v241, s40, v168                              // 0000000024F0: 69E35028
	v_and_b32_e32 v168, 15, v0                                 // 0000000024F4: 2750008F
	v_lshlrev_b32_e32 v169, 7, v168                            // 0000000024F8: 25535087
	v_lshrrev_b32_e32 v168, 1, v168                            // 0000000024FC: 21515081
	v_lshlrev_b32_e32 v168, 5, v168                            // 000000002500: 25515085
	v_lshrrev_b32_e32 v170, 4, v0                              // 000000002504: 21540084
	v_lshlrev_b32_e32 v170, 4, v170                            // 000000002508: 25555484
	v_add3_u32 v243, v168, v169, v170                          // 00000000250C: D1FF00F3 06AB53A8
	s_mul_i32 s40, s46, 0x240                                  // 000000002514: 9228FF2E 00000240
	v_lshrrev_b32_e32 v168, 5, v0                              // 00000000251C: 21500085
	v_mul_i32_i24_e32 v168, 0x120, v168                        // 000000002520: 0D5150FF 00000120
	v_lshrrev_b32_e32 v169, 4, v0                              // 000000002528: 21520084
	v_and_b32_e32 v169, 1, v169                                // 00000000252C: 27535281
	v_lshlrev_b32_e32 v169, 3, v169                            // 000000002530: 25535283
	v_and_b32_e32 v170, 15, v0                                 // 000000002534: 2754008F
	v_lshlrev_b32_e32 v170, 4, v170                            // 000000002538: 25555484
	v_add3_u32 v244, v168, v169, v170                          // 00000000253C: D1FF00F4 06AB53A8
	v_add_u32_e32 v244, s40, v244                              // 000000002544: 69E9E828
	s_lshl_b32 s40, s46, 6                                     // 000000002548: 8E28862E
	v_lshrrev_b32_e32 v168, 4, v0                              // 00000000254C: 21500084
	v_lshlrev_b32_e32 v168, 4, v168                            // 000000002550: 25515084
	v_and_b32_e32 v169, 15, v0                                 // 000000002554: 2752008F
	v_mul_i32_i24_e32 v169, 0x120, v169                        // 000000002558: 0D5352FF 00000120
	v_add3_u32 v245, v168, v169, s40                           // 000000002560: D1FF00F5 00A353A8
	buffer_load_dwordx4 v[4:7], v226, s[8:11], 0 offen         // 000000002568: E05C1000 800204E2
	buffer_load_dwordx4 v[8:11], v227, s[8:11], 0 offen        // 000000002570: E05C1000 800208E3
	buffer_load_dwordx4 v[12:15], v228, s[8:11], 0 offen       // 000000002578: E05C1000 80020CE4
	v_lshrrev_b32_e32 v168, 4, v0                              // 000000002580: 21500084
	v_and_b32_e32 v169, 15, v0                                 // 000000002584: 2752008F
	v_add_u32_e32 v170, 1, v168                                // 000000002588: 69555081
	v_and_b32_e32 v212, 3, v170                                // 00000000258C: 27A95483
	v_lshlrev_b32_e32 v212, 4, v212                            // 000000002590: 25A9A884
	v_add_u32_e32 v212, v169, v212                             // 000000002594: 69A9A9A9
	v_lshlrev_b32_e32 v212, 2, v212                            // 000000002598: 25A9A882
	v_add_u32_e32 v170, 2, v168                                // 00000000259C: 69555082
	v_and_b32_e32 v213, 3, v170                                // 0000000025A0: 27AB5483
	v_lshlrev_b32_e32 v213, 4, v213                            // 0000000025A4: 25ABAA84
	v_add_u32_e32 v213, v169, v213                             // 0000000025A8: 69ABABA9
	v_lshlrev_b32_e32 v213, 2, v213                            // 0000000025AC: 25ABAA82
	v_add_u32_e32 v170, 3, v168                                // 0000000025B0: 69555083
	v_and_b32_e32 v214, 3, v170                                // 0000000025B4: 27AD5483
	v_lshlrev_b32_e32 v214, 4, v214                            // 0000000025B8: 25ADAC84
	v_add_u32_e32 v214, v169, v214                             // 0000000025BC: 69ADADA9
	v_lshlrev_b32_e32 v214, 2, v214                            // 0000000025C0: 25ADAC82
	s_mov_b32 s14, 0x80000000                                  // 0000000025C4: BE8E00FF 80000000
	s_mov_b32 s15, 0x20000                                     // 0000000025CC: BE8F00FF 00020000
	s_and_b32 s13, s13, 0xffff                                 // 0000000025D4: 860DFF0D 0000FFFF
	s_or_b32 s13, s13, 0                                       // 0000000025DC: 870D800D
	s_mul_i32 s40, s47, s57                                    // 0000000025E0: 9228392F
	s_mul_i32 s41, s46, 0x100                                  // 0000000025E4: 9229FF2E 00000100
	s_add_u32 s41, s40, s41                                    // 0000000025EC: 80292928
	s_add_u32 s76, s12, s41                                    // 0000000025F0: 804C290C
	s_addc_u32 s77, s13, 0                                     // 0000000025F4: 824D800D
	s_mov_b32 s18, 0x80000000                                  // 0000000025F8: BE9200FF 80000000
	s_mov_b32 s19, 0x20000                                     // 000000002600: BE9300FF 00020000
	s_and_b32 s17, s17, 0xffff                                 // 000000002608: 8611FF11 0000FFFF
	s_or_b32 s17, s17, 0                                       // 000000002610: 87118011
	s_add_u32 s78, s16, s41                                    // 000000002614: 804E2910
	s_addc_u32 s79, s17, 0                                     // 000000002618: 824F8011
	s_mov_b32 s30, 0x80000000                                  // 00000000261C: BE9E00FF 80000000
	s_mov_b32 s31, 0x20000                                     // 000000002624: BE9F00FF 00020000
	s_and_b32 s29, s29, 0xffff                                 // 00000000262C: 861DFF1D 0000FFFF
	s_or_b32 s29, s29, 0                                       // 000000002634: 871D801D
	s_mul_i32 s40, s47, 0x1000                                 // 000000002638: 9228FF2F 00001000
	s_mul_i32 s41, s46, 64                                     // 000000002640: 9229C02E
	s_add_u32 s41, s40, s41                                    // 000000002644: 80292928
	s_add_u32 s80, s28, s41                                    // 000000002648: 8050291C
	s_addc_u32 s81, s29, 0                                     // 00000000264C: 8251801D
	s_mov_b32 s34, 0x80000000                                  // 000000002650: BEA200FF 80000000
	s_mov_b32 s35, 0x20000                                     // 000000002658: BEA300FF 00020000
	s_and_b32 s33, s33, 0xffff                                 // 000000002660: 8621FF21 0000FFFF
	s_or_b32 s33, s33, 0                                       // 000000002668: 87218021
	s_add_u32 s82, s32, s41                                    // 00000000266C: 80522920
	s_addc_u32 s83, s33, 0                                     // 000000002670: 82538021
	v_lshrrev_b32_e32 v168, 4, v0                              // 000000002674: 21500084
	v_and_b32_e32 v169, 15, v0                                 // 000000002678: 2752008F
	v_lshlrev_b32_e32 v170, 4, v169                            // 00000000267C: 25555284
	v_mul_i32_i24_e32 v232, 0x4000, v168                       // 000000002680: 0DD150FF 00004000
	v_add_u32_e32 v232, v170, v232                             // 000000002688: 69D1D1AA
	v_add_u32_e32 v233, 0x10000, v232                          // 00000000268C: 69D3D0FF 00010000
	v_mul_i32_i24_e32 v234, 0x800, v168                        // 000000002694: 0DD550FF 00000800
	v_add_u32_e32 v234, v170, v234                             // 00000000269C: 69D5D5AA
	v_add_u32_e32 v235, 0x2000, v234                           // 0000000026A0: 69D7D4FF 00002000
	v_add_u32_e32 v236, 0x2000, v235                           // 0000000026A8: 69D9D6FF 00002000
	v_add_u32_e32 v237, 0x2000, v236                           // 0000000026B0: 69DBD8FF 00002000
	v_lshlrev_b32_e32 v168, 2, v168                            // 0000000026B8: 25515082
	v_lshrrev_b32_e32 v169, 2, v169                            // 0000000026BC: 21535282
	v_lshlrev_b32_e32 v169, 6, v169                            // 0000000026C0: 25535286
	v_and_b32_e32 v170, 3, v0                                  // 0000000026C4: 27540083
	v_add3_u32 v168, v168, v169, v170                          // 0000000026C8: D1FF00A8 06AB53A8
	v_lshlrev_b32_e32 v238, 2, v168                            // 0000000026D0: 25DD5082
	v_mov_b32_e32 v239, v238                                   // 0000000026D4: 7FDE03EE
	s_waitcnt lgkmcnt(0)                                       // 0000000026D8: BF8CC07F
	s_mul_i32 s64, s61, s56                                    // 0000000026DC: 9240383D
	s_mov_b32 s65, s64                                         // 0000000026E0: BEC10040
	s_mul_i32 s58, 0x1000, s53                                 // 0000000026E4: 923A35FF 00001000
	s_mul_i32 s66, s61, s58                                    // 0000000026EC: 92423A3D
	s_add_u32 s12, s76, s64                                    // 0000000026F0: 800C404C
	s_addc_u32 s13, s77, 0                                     // 0000000026F4: 820D804D
	s_add_u32 s16, s78, s65                                    // 0000000026F8: 8010414E
	s_addc_u32 s17, s79, 0                                     // 0000000026FC: 8211804F
	s_add_u32 s28, s80, s66                                    // 000000002700: 801C4250
	s_addc_u32 s29, s81, 0                                     // 000000002704: 821D8051
	s_add_u32 s32, s82, s66                                    // 000000002708: 80204252
	s_addc_u32 s33, s83, 0                                     // 00000000270C: 82218053
	s_add_u32 s64, s64, 0x1000                                 // 000000002710: 8040FF40 00001000
	s_add_u32 s65, s65, 0x8000                                 // 000000002718: 8041FF41 00008000
	s_add_u32 s66, s66, 0x400                                  // 000000002720: 8042FF42 00000400
	buffer_load_dwordx4 a[24:27], v232, s[12:15], 0 offen      // 000000002728: E05C1000 808318E8
	buffer_load_dwordx4 a[28:31], v233, s[12:15], 0 offen      // 000000002730: E05C1000 80831CE9
	buffer_load_dwordx4 a[32:35], v232, s[12:15], 0 offen offset:1024// 000000002738: E05C1400 808320E8
	buffer_load_dwordx4 a[36:39], v233, s[12:15], 0 offen offset:1024// 000000002740: E05C1400 808324E9
	buffer_load_dwordx4 a[40:43], v232, s[12:15], 0 offen offset:2048// 000000002748: E05C1800 808328E8
	buffer_load_dwordx4 a[44:47], v233, s[12:15], 0 offen offset:2048// 000000002750: E05C1800 80832CE9
	buffer_load_dwordx4 a[48:51], v232, s[12:15], 0 offen offset:3072// 000000002758: E05C1C00 808330E8
	buffer_load_dwordx4 a[52:55], v233, s[12:15], 0 offen offset:3072// 000000002760: E05C1C00 808334E9
	buffer_load_dword v154, v238, s[28:31], 0 offen            // 000000002768: E0501000 80079AEE
	buffer_load_dword v156, v239, s[32:35], 0 offen            // 000000002770: E0501000 80089CEF
	buffer_load_dwordx4 a[88:91], v234, s[16:19], 0 offen      // 000000002778: E05C1000 808458EA
	buffer_load_dwordx4 a[92:95], v235, s[16:19], 0 offen      // 000000002780: E05C1000 80845CEB
	buffer_load_dwordx4 a[96:99], v236, s[16:19], 0 offen      // 000000002788: E05C1000 808460EC
	buffer_load_dwordx4 a[100:103], v237, s[16:19], 0 offen    // 000000002790: E05C1000 808464ED
	buffer_load_dwordx4 a[104:107], v234, s[16:19], 0 offen offset:1024// 000000002798: E05C1400 808468EA
	buffer_load_dwordx4 a[108:111], v235, s[16:19], 0 offen offset:1024// 0000000027A0: E05C1400 80846CEB
	buffer_load_dwordx4 a[112:115], v236, s[16:19], 0 offen offset:1024// 0000000027A8: E05C1400 808470EC
	buffer_load_dwordx4 a[116:119], v237, s[16:19], 0 offen offset:1024// 0000000027B0: E05C1400 808474ED
	s_lshl_b32 s40, s46, 6                                     // 0000000027B8: 8E28862E
	v_lshrrev_b32_e32 v168, 4, v0                              // 0000000027BC: 21500084
	v_lshlrev_b32_e32 v168, 8, v168                            // 0000000027C0: 25515088
	v_and_b32_e32 v169, 15, v0                                 // 0000000027C4: 2752008F
	v_lshlrev_b32_e32 v169, 2, v169                            // 0000000027C8: 25535282
	v_add3_u32 v246, s40, v168, v169                           // 0000000027CC: D1FF00F6 06A75028
	v_lshlrev_b32_e32 v246, 2, v246                            // 0000000027D4: 25EDEC82
	v_and_b32_e32 v247, 15, v0                                 // 0000000027D8: 27EE008F
	v_lshlrev_b32_e32 v247, 4, v247                            // 0000000027DC: 25EFEE84
	s_lshl_b32 s40, s46, 8                                     // 0000000027E0: 8E28882E
	v_and_b32_e32 v169, 15, v0                                 // 0000000027E4: 2752008F
	v_lshlrev_b32_e32 v169, 4, v169                            // 0000000027E8: 25535284
	v_lshrrev_b32_e32 v170, 4, v0                              // 0000000027EC: 21540084
	v_lshlrev_b32_e32 v170, 2, v170                            // 0000000027F0: 25555482
	v_add3_u32 v248, v169, v170, s40                           // 0000000027F4: D1FF00F8 00A355A9
	v_and_b32_e32 v168, 15, v0                                 // 0000000027FC: 2750008F
	v_lshlrev_b32_e32 v168, 4, v168                            // 000000002800: 25515084
	v_lshrrev_b32_e32 v169, 4, v0                              // 000000002804: 21520084
	v_lshlrev_b32_e32 v169, 8, v169                            // 000000002808: 25535288
	v_add_u32_e32 v249, v168, v169                             // 00000000280C: 69F353A8
	s_lshl_b32 s40, s46, 4                                     // 000000002810: 8E28842E
	v_lshrrev_b32_e32 v222, 4, v0                              // 000000002814: 21BC0084
	v_lshlrev_b32_e32 v222, 2, v222                            // 000000002818: 25BDBC82
	v_add_u32_e32 v222, s40, v222                              // 00000000281C: 69BDBC28
	v_add_u32_e32 v168, 0x80, v222                             // 000000002820: 6951BCFF 00000080
	v_cndmask_b32_e64 v223, v222, v168, s[88:89]               // 000000002828: D10000DF 016351DE
	s_sub_i32 s40, s59, 3                                      // 000000002830: 81A8833B
	v_and_b32_e32 v168, 15, v0                                 // 000000002834: 2750008F
	v_add_u32_e32 v169, 16, v168                               // 000000002838: 69535090
	v_and_b32_e32 v170, 7, v0                                  // 00000000283C: 27540087
	v_add_u32_e32 v170, 32, v170                               // 000000002840: 695554A0
	v_mul_u32_u24_e32 v171, 13, v168                           // 000000002844: 1157508D
	v_lshrrev_b32_e32 v171, 7, v171                            // 000000002848: 21575687
	v_mul_u32_u24_e32 v172, 10, v171                           // 00000000284C: 1159568A
	v_sub_u32_e32 v172, v168, v172                             // 000000002850: 6B5959A8
	v_add_u32_e32 v219, s40, v171                              // 000000002854: 69B75628
	v_mul_u32_u24_e32 v171, 13, v169                           // 000000002858: 1157528D
	v_lshrrev_b32_e32 v171, 7, v171                            // 00000000285C: 21575687
	v_mul_u32_u24_e32 v172, 10, v171                           // 000000002860: 1159568A
	v_sub_u32_e32 v172, v169, v172                             // 000000002864: 6B5959A9
	v_add_u32_e32 v220, s40, v171                              // 000000002868: 69B95628
	v_mul_u32_u24_e32 v171, 13, v170                           // 00000000286C: 1157548D
	v_lshrrev_b32_e32 v171, 7, v171                            // 000000002870: 21575687
	v_mul_u32_u24_e32 v172, 10, v171                           // 000000002874: 1159568A
	v_sub_u32_e32 v172, v170, v172                             // 000000002878: 6B5959AA
	v_add_u32_e32 v221, s40, v171                              // 00000000287C: 69BB5628
	s_waitcnt vmcnt(18)                                        // 000000002880: BF8C4F72
	v_lshlrev_b32_e32 v16, 16, v4                              // 000000002884: 24200890
	v_and_b32_e32 v17, 0xffff0000, v4                          // 000000002888: 262208FF FFFF0000
	v_lshlrev_b32_e32 v18, 16, v5                              // 000000002890: 24240A90
	v_and_b32_e32 v19, 0xffff0000, v5                          // 000000002894: 26260AFF FFFF0000
	v_lshlrev_b32_e32 v20, 16, v6                              // 00000000289C: 24280C90
	v_and_b32_e32 v21, 0xffff0000, v6                          // 0000000028A0: 262A0CFF FFFF0000
	v_lshlrev_b32_e32 v22, 16, v7                              // 0000000028A8: 242C0E90
	v_and_b32_e32 v23, 0xffff0000, v7                          // 0000000028AC: 262E0EFF FFFF0000
	v_lshlrev_b32_e32 v24, 16, v8                              // 0000000028B4: 24301090
	v_and_b32_e32 v25, 0xffff0000, v8                          // 0000000028B8: 263210FF FFFF0000
	v_lshlrev_b32_e32 v26, 16, v9                              // 0000000028C0: 24341290
	v_and_b32_e32 v27, 0xffff0000, v9                          // 0000000028C4: 263612FF FFFF0000
	v_lshlrev_b32_e32 v28, 16, v10                             // 0000000028CC: 24381490
	v_and_b32_e32 v29, 0xffff0000, v10                         // 0000000028D0: 263A14FF FFFF0000
	v_lshlrev_b32_e32 v30, 16, v11                             // 0000000028D8: 243C1690
	v_and_b32_e32 v31, 0xffff0000, v11                         // 0000000028DC: 263E16FF FFFF0000
	v_lshlrev_b32_e32 v32, 16, v12                             // 0000000028E4: 24401890
	v_and_b32_e32 v33, 0xffff0000, v12                         // 0000000028E8: 264218FF FFFF0000
	v_lshlrev_b32_e32 v34, 16, v13                             // 0000000028F0: 24441A90
	v_and_b32_e32 v35, 0xffff0000, v13                         // 0000000028F4: 26461AFF FFFF0000
	v_lshlrev_b32_e32 v36, 16, v14                             // 0000000028FC: 24481C90
	v_and_b32_e32 v37, 0xffff0000, v14                         // 000000002900: 264A1CFF FFFF0000
	v_lshlrev_b32_e32 v38, 16, v15                             // 000000002908: 244C1E90
	v_and_b32_e32 v39, 0xffff0000, v15                         // 00000000290C: 264E1EFF FFFF0000
	v_mov_b32_e32 v188, 0x358637bd                             // 000000002914: 7F7802FF 358637BD
	v_max3_f32 v188, |v16|, |v17|, v188                        // 00000000291C: D1D303BC 06F22310
	v_max3_f32 v188, |v18|, |v19|, v188                        // 000000002924: D1D303BC 06F22712
	v_max3_f32 v188, |v20|, |v21|, v188                        // 00000000292C: D1D303BC 06F22B14
	v_max3_f32 v188, |v22|, |v23|, v188                        // 000000002934: D1D303BC 06F22F16
	v_mov_b32_e32 v189, 0x358637bd                             // 00000000293C: 7F7A02FF 358637BD
	v_max3_f32 v189, |v24|, |v25|, v189                        // 000000002944: D1D303BD 06F63318
	v_max3_f32 v189, |v26|, |v27|, v189                        // 00000000294C: D1D303BD 06F6371A
	v_max3_f32 v189, |v28|, |v29|, v189                        // 000000002954: D1D303BD 06F63B1C
	v_max3_f32 v189, |v30|, |v31|, v189                        // 00000000295C: D1D303BD 06F63F1E
	v_mov_b32_e32 v190, 0x358637bd                             // 000000002964: 7F7C02FF 358637BD
	v_max3_f32 v190, |v32|, |v33|, v190                        // 00000000296C: D1D303BE 06FA4320
	v_max3_f32 v190, |v34|, |v35|, v190                        // 000000002974: D1D303BE 06FA4722
	v_max3_f32 v190, |v36|, |v37|, v190                        // 00000000297C: D1D303BE 06FA4B24
	v_max3_f32 v190, |v38|, |v39|, v190                        // 000000002984: D1D303BE 06FA4F26
	v_max_f32_dpp v188, v188, v188 row_shl:8 row_mask:0xf bank_mask:0xf bound_ctrl:1// 00000000298C: 177978FA FF0908BC
	v_max_f32_dpp v189, v189, v189 row_shl:8 row_mask:0xf bank_mask:0xf bound_ctrl:1// 000000002994: 177B7AFA FF0908BD
	v_max_f32_dpp v190, v190, v190 row_shl:8 row_mask:0xf bank_mask:0xf bound_ctrl:1// 00000000299C: 177D7CFA FF0908BE
	v_max_f32_dpp v188, v188, v188 row_shl:4 row_mask:0xf bank_mask:0xf bound_ctrl:1// 0000000029A4: 177978FA FF0904BC
	v_max_f32_dpp v189, v189, v189 row_shl:4 row_mask:0xf bank_mask:0xf bound_ctrl:1// 0000000029AC: 177B7AFA FF0904BD
	v_max_f32_dpp v190, v190, v190 row_shl:4 row_mask:0xf bank_mask:0xf bound_ctrl:1// 0000000029B4: 177D7CFA FF0904BE
	v_max_f32_dpp v188, v188, v188 row_shl:2 row_mask:0xf bank_mask:0xf bound_ctrl:1// 0000000029BC: 177978FA FF0902BC
	v_max_f32_dpp v189, v189, v189 row_shl:2 row_mask:0xf bank_mask:0xf bound_ctrl:1// 0000000029C4: 177B7AFA FF0902BD
	v_max_f32_dpp v190, v190, v190 row_shl:2 row_mask:0xf bank_mask:0xf bound_ctrl:1// 0000000029CC: 177D7CFA FF0902BE
	v_max_f32_dpp v188, v188, v188 row_shl:1 row_mask:0xf bank_mask:0xf bound_ctrl:1// 0000000029D4: 177978FA FF0901BC
	v_max_f32_dpp v189, v189, v189 row_shl:1 row_mask:0xf bank_mask:0xf bound_ctrl:1// 0000000029DC: 177B7AFA FF0901BD
	v_max_f32_dpp v190, v190, v190 row_shl:1 row_mask:0xf bank_mask:0xf bound_ctrl:1// 0000000029E4: 177D7CFA FF0901BE
	ds_write_b128 v240, v[188:191] offset:4096                 // 0000000029EC: D9BE1000 0000BCF0
	s_waitcnt lgkmcnt(0)                                       // 0000000029F4: BF8CC07F
	s_barrier                                                  // 0000000029F8: BF8A0000
	ds_read_b128 v[188:191], v242 offset:4096                  // 0000000029FC: D9FE1000 BC0000F2
	s_waitcnt lgkmcnt(0)                                       // 000000002A04: BF8CC07F
	v_rcp_f32_e32 v188, v188                                   // 000000002A08: 7F7845BC
	v_rcp_f32_e32 v189, v189                                   // 000000002A0C: 7F7A45BD
	v_rcp_f32_e32 v190, v190                                   // 000000002A10: 7F7C45BE
	v_mul_f32_e32 v188, 0x43700000, v188                       // 000000002A14: 0B7978FF 43700000
	v_mul_f32_e32 v189, 0x43700000, v189                       // 000000002A1C: 0B7B7AFF 43700000
	v_mul_f32_e32 v190, 0x43700000, v190                       // 000000002A24: 0B7D7CFF 43700000
	s_lshl_b32 s40, s46, 2                                     // 000000002A2C: 8E28822E
	v_lshrrev_b32_e32 v171, 4, v0                              // 000000002A30: 21560084
	v_add_u32_e32 v171, s40, v171                              // 000000002A34: 69575628
	v_lshlrev_b32_e32 v171, 2, v171                            // 000000002A38: 25575682
	ds_bpermute_b32 v168, v171, v188                           // 000000002A3C: D87E0000 A800BCAB
	ds_bpermute_b32 v169, v171, v189                           // 000000002A44: D87E0000 A900BDAB
	ds_bpermute_b32 v170, v171, v190                           // 000000002A4C: D87E0000 AA00BEAB
	v_mov_b32_dpp v172, v190 row_shr:8 row_mask:0xf bank_mask:0xf// 000000002A54: 7F5802FA FF0118BE
	v_cndmask_b32_e64 v190, v190, v172, s[88:89]               // 000000002A5C: D10000BE 016359BE
	v_rcp_f32_e32 v148, v188                                   // 000000002A64: 7F2845BC
	v_rcp_f32_e32 v150, v189                                   // 000000002A68: 7F2C45BD
	v_rcp_f32_e32 v152, v190                                   // 000000002A6C: 7F3045BE
	v_mov_b32_e32 v149, v148                                   // 000000002A70: 7F2A0394
	v_mov_b32_e32 v151, v150                                   // 000000002A74: 7F2E0396
	v_mov_b32_e32 v153, v152                                   // 000000002A78: 7F320398
	s_waitcnt lgkmcnt(0)                                       // 000000002A7C: BF8CC07F
	v_mul_f32_e32 v16, v16, v168                               // 000000002A80: 0A215110
	v_mul_f32_e32 v17, v17, v168                               // 000000002A84: 0A235111
	v_mul_f32_e32 v18, v18, v168                               // 000000002A88: 0A255112
	v_mul_f32_e32 v19, v19, v168                               // 000000002A8C: 0A275113
	v_mul_f32_e32 v20, v20, v168                               // 000000002A90: 0A295114
	v_mul_f32_e32 v21, v21, v168                               // 000000002A94: 0A2B5115
	v_mul_f32_e32 v22, v22, v168                               // 000000002A98: 0A2D5116
	v_mul_f32_e32 v23, v23, v168                               // 000000002A9C: 0A2F5117
	v_mul_f32_e32 v24, v24, v169                               // 000000002AA0: 0A315318
	v_mul_f32_e32 v25, v25, v169                               // 000000002AA4: 0A335319
	v_mul_f32_e32 v26, v26, v169                               // 000000002AA8: 0A35531A
	v_mul_f32_e32 v27, v27, v169                               // 000000002AAC: 0A37531B
	v_mul_f32_e32 v28, v28, v169                               // 000000002AB0: 0A39531C
	v_mul_f32_e32 v29, v29, v169                               // 000000002AB4: 0A3B531D
	v_mul_f32_e32 v30, v30, v169                               // 000000002AB8: 0A3D531E
	v_mul_f32_e32 v31, v31, v169                               // 000000002ABC: 0A3F531F
	v_mul_f32_e32 v32, v32, v170                               // 000000002AC0: 0A415520
	v_mul_f32_e32 v33, v33, v170                               // 000000002AC4: 0A435521
	v_mul_f32_e32 v34, v34, v170                               // 000000002AC8: 0A455522
	v_mul_f32_e32 v35, v35, v170                               // 000000002ACC: 0A475523
	v_mul_f32_e32 v36, v36, v170                               // 000000002AD0: 0A495524
	v_mul_f32_e32 v37, v37, v170                               // 000000002AD4: 0A4B5525
	v_mul_f32_e32 v38, v38, v170                               // 000000002AD8: 0A4D5526
	v_mul_f32_e32 v39, v39, v170                               // 000000002ADC: 0A4F5527
	v_cvt_pk_fp8_f32 v16, v16, v17                             // 000000002AE0: D2A20010 00022310
	v_cvt_pk_fp8_f32 v16, v18, v19 op_sel:[0,0,1]              // 000000002AE8: D2A24010 00022712
	v_cvt_pk_fp8_f32 v17, v20, v21                             // 000000002AF0: D2A20011 00022B14
	v_cvt_pk_fp8_f32 v17, v22, v23 op_sel:[0,0,1]              // 000000002AF8: D2A24011 00022F16
	v_cvt_pk_fp8_f32 v18, v24, v25                             // 000000002B00: D2A20012 00023318
	v_cvt_pk_fp8_f32 v18, v26, v27 op_sel:[0,0,1]              // 000000002B08: D2A24012 0002371A
	v_cvt_pk_fp8_f32 v19, v28, v29                             // 000000002B10: D2A20013 00023B1C
	v_cvt_pk_fp8_f32 v19, v30, v31 op_sel:[0,0,1]              // 000000002B18: D2A24013 00023F1E
	v_cvt_pk_fp8_f32 v20, v32, v33                             // 000000002B20: D2A20014 00024320
	v_cvt_pk_fp8_f32 v20, v34, v35 op_sel:[0,0,1]              // 000000002B28: D2A24014 00024722
	v_cvt_pk_fp8_f32 v21, v36, v37                             // 000000002B30: D2A20015 00024B24
	v_cvt_pk_fp8_f32 v21, v38, v39 op_sel:[0,0,1]              // 000000002B38: D2A24015 00024F26
	v_and_b32_e32 v20, s92, v20                                // 000000002B40: 2628285C
	v_and_b32_e32 v21, s92, v21                                // 000000002B44: 262A2A5C
	ds_write_b64 v241, v[16:17] offset:8192                    // 000000002B48: D89A2000 000010F1
	ds_write_b64 v241, v[18:19] offset:10496                   // 000000002B50: D89A2900 000012F1
	ds_write_b64 v241, v[20:21] offset:12800                   // 000000002B58: D89A3200 000014F1
	s_waitcnt lgkmcnt(0)                                       // 000000002B60: BF8CC07F
	s_barrier                                                  // 000000002B64: BF8A0000
	ds_read_b128 a[0:3], v243 offset:8192                      // 000000002B68: DBFE2000 000000F3
	ds_read_b128 a[4:7], v243 offset:8256                      // 000000002B70: DBFE2040 040000F3
	ds_read_b128 a[8:11], v243 offset:10496                    // 000000002B78: DBFE2900 080000F3
	ds_read_b128 a[12:15], v243 offset:10560                   // 000000002B80: DBFE2940 0C0000F3
	ds_read_b128 a[16:19], v243 offset:12800                   // 000000002B88: DBFE3200 100000F3
	ds_read_b128 a[20:23], v243 offset:12864                   // 000000002B90: DBFE3240 140000F3
	s_mov_b32 s86, s51                                         // 000000002B98: BED60033
	s_mov_b32 s87, s51                                         // 000000002B9C: BED70033
	s_sub_i32 s40, s59, 3                                      // 000000002BA0: 81A8833B
	s_sub_i32 s60, s59, 0x100                                  // 000000002BA4: 81BCFF3B 00000100
	s_and_b32 s50, s40, 0xffffff00                             // 000000002BAC: 8632FF28 FFFFFF00
	s_mov_b32 s49, 0                                           // 000000002BB4: BEB10080
	s_mov_b32 s62, 0                                           // 000000002BB8: BEBE0080
	s_waitcnt lgkmcnt(0)                                       // 000000002BBC: BF8CC07F
	s_cmp_lt_i32 s46, 2                                        // 000000002BC0: BF04822E
	s_cbranch_scc0 label_13C3                                  // 000000002BC4: BF841111

0000000000002bc8 <label_02B2>:
	s_cmp_lt_i32 s49, s50                                      // 000000002BC8: BF043231
	s_cbranch_scc0 label_24D4                                  // 000000002BCC: BF842220
	s_waitcnt vmcnt(10)                                        // 000000002BD0: BF8C0F7A
	v_mfma_f32_16x16x32_fp8_fp8 v[4:7], a[24:25], a[0:1], 0    // 000000002BD4: D3F30004 1A020118
	s_add_u32 s12, s76, s64                                    // 000000002BDC: 800C404C
	s_addc_u32 s13, s77, 0                                     // 000000002BE0: 820D804D
	v_mfma_f32_16x16x32_fp8_fp8 v[4:7], a[26:27], a[2:3], v[4:7]// 000000002BE4: D3F30004 1C12051A
	s_add_u32 s16, s78, s65                                    // 000000002BEC: 8010414E
	s_addc_u32 s17, s79, 0                                     // 000000002BF0: 8211804F
	v_mfma_f32_16x16x32_fp8_fp8 v[4:7], a[28:29], a[4:5], v[4:7]// 000000002BF4: D3F30004 1C12091C
	buffer_load_dwordx4 a[56:59], v232, s[12:15], 0 offen      // 000000002BFC: E05C1000 808338E8
	v_mfma_f32_16x16x32_fp8_fp8 v[4:7], a[30:31], a[6:7], v[4:7]// 000000002C04: D3F30004 1C120D1E
	s_add_u32 s28, s80, s66                                    // 000000002C0C: 801C4250
	s_addc_u32 s29, s81, 0                                     // 000000002C10: 821D8051
	v_mfma_f32_16x16x32_fp8_fp8 v[8:11], a[32:33], a[0:1], 0   // 000000002C14: D3F30008 1A020120
	s_add_u32 s32, s82, s66                                    // 000000002C1C: 80204252
	s_addc_u32 s33, s83, 0                                     // 000000002C20: 82218053
	v_mfma_f32_16x16x32_fp8_fp8 v[8:11], a[34:35], a[2:3], v[8:11]// 000000002C24: D3F30008 1C220522
	s_add_u32 s64, s64, 0x1000                                 // 000000002C2C: 8040FF40 00001000
	s_add_u32 s65, s65, 0x8000                                 // 000000002C34: 8041FF41 00008000
	v_mfma_f32_16x16x32_fp8_fp8 v[8:11], a[36:37], a[4:5], v[8:11]// 000000002C3C: D3F30008 1C220924
	buffer_load_dwordx4 a[60:63], v233, s[12:15], 0 offen      // 000000002C44: E05C1000 80833CE9
	v_mfma_f32_16x16x32_fp8_fp8 v[8:11], a[38:39], a[6:7], v[8:11]// 000000002C4C: D3F30008 1C220D26
	s_add_u32 s66, s66, 0x400                                  // 000000002C54: 8042FF42 00000400
	v_mfma_f32_16x16x32_fp8_fp8 v[12:15], a[40:41], a[0:1], 0  // 000000002C5C: D3F3000C 1A020128
	v_mfma_f32_16x16x32_fp8_fp8 v[12:15], a[42:43], a[2:3], v[12:15]// 000000002C64: D3F3000C 1C32052A
	v_mfma_f32_16x16x32_fp8_fp8 v[12:15], a[44:45], a[4:5], v[12:15]// 000000002C6C: D3F3000C 1C32092C
	buffer_load_dwordx4 a[64:67], v232, s[12:15], 0 offen offset:1024// 000000002C74: E05C1400 808340E8
	v_mfma_f32_16x16x32_fp8_fp8 v[12:15], a[46:47], a[6:7], v[12:15]// 000000002C7C: D3F3000C 1C320D2E
	v_mfma_f32_16x16x32_fp8_fp8 v[16:19], a[48:49], a[0:1], 0  // 000000002C84: D3F30010 1A020130
	v_mfma_f32_16x16x32_fp8_fp8 v[16:19], a[50:51], a[2:3], v[16:19]// 000000002C8C: D3F30010 1C420532
	v_mfma_f32_16x16x32_fp8_fp8 v[16:19], a[52:53], a[4:5], v[16:19]// 000000002C94: D3F30010 1C420934
	buffer_load_dwordx4 a[68:71], v233, s[12:15], 0 offen offset:1024// 000000002C9C: E05C1400 808344E9
	v_mfma_f32_16x16x32_fp8_fp8 v[16:19], a[54:55], a[6:7], v[16:19]// 000000002CA4: D3F30010 1C420D36
	v_mfma_f32_16x16x32_fp8_fp8 v[20:23], a[24:25], a[8:9], 0  // 000000002CAC: D3F30014 1A021118
	v_mfma_f32_16x16x32_fp8_fp8 v[20:23], a[26:27], a[10:11], v[20:23]// 000000002CB4: D3F30014 1C52151A
	v_mfma_f32_16x16x32_fp8_fp8 v[20:23], a[28:29], a[12:13], v[20:23]// 000000002CBC: D3F30014 1C52191C
	buffer_load_dwordx4 a[72:75], v232, s[12:15], 0 offen offset:2048// 000000002CC4: E05C1800 808348E8
	v_mfma_f32_16x16x32_fp8_fp8 v[20:23], a[30:31], a[14:15], v[20:23]// 000000002CCC: D3F30014 1C521D1E
	v_mfma_f32_16x16x32_fp8_fp8 v[24:27], a[32:33], a[8:9], 0  // 000000002CD4: D3F30018 1A021120
	v_mfma_f32_16x16x32_fp8_fp8 v[24:27], a[34:35], a[10:11], v[24:27]// 000000002CDC: D3F30018 1C621522
	v_mfma_f32_16x16x32_fp8_fp8 v[24:27], a[36:37], a[12:13], v[24:27]// 000000002CE4: D3F30018 1C621924
	buffer_load_dwordx4 a[76:79], v233, s[12:15], 0 offen offset:2048// 000000002CEC: E05C1800 80834CE9
	v_mfma_f32_16x16x32_fp8_fp8 v[24:27], a[38:39], a[14:15], v[24:27]// 000000002CF4: D3F30018 1C621D26
	v_mfma_f32_16x16x32_fp8_fp8 v[28:31], a[40:41], a[8:9], 0  // 000000002CFC: D3F3001C 1A021128
	v_mfma_f32_16x16x32_fp8_fp8 v[28:31], a[42:43], a[10:11], v[28:31]// 000000002D04: D3F3001C 1C72152A
	v_mfma_f32_16x16x32_fp8_fp8 v[28:31], a[44:45], a[12:13], v[28:31]// 000000002D0C: D3F3001C 1C72192C
	buffer_load_dwordx4 a[80:83], v232, s[12:15], 0 offen offset:3072// 000000002D14: E05C1C00 808350E8
	v_mfma_f32_16x16x32_fp8_fp8 v[28:31], a[46:47], a[14:15], v[28:31]// 000000002D1C: D3F3001C 1C721D2E
	v_mfma_f32_16x16x32_fp8_fp8 v[32:35], a[48:49], a[8:9], 0  // 000000002D24: D3F30020 1A021130
	v_mfma_f32_16x16x32_fp8_fp8 v[32:35], a[50:51], a[10:11], v[32:35]// 000000002D2C: D3F30020 1C821532
	v_mfma_f32_16x16x32_fp8_fp8 v[32:35], a[52:53], a[12:13], v[32:35]// 000000002D34: D3F30020 1C821934
	buffer_load_dwordx4 a[84:87], v233, s[12:15], 0 offen offset:3072// 000000002D3C: E05C1C00 808354E9
	v_mfma_f32_16x16x32_fp8_fp8 v[32:35], a[54:55], a[14:15], v[32:35]// 000000002D44: D3F30020 1C821D36
	v_mfma_f32_16x16x32_fp8_fp8 v[36:39], a[24:25], a[16:17], 0// 000000002D4C: D3F30024 1A022118
	v_mfma_f32_16x16x32_fp8_fp8 v[36:39], a[26:27], a[18:19], v[36:39]// 000000002D54: D3F30024 1C92251A
	v_mfma_f32_16x16x32_fp8_fp8 v[36:39], a[28:29], a[20:21], v[36:39]// 000000002D5C: D3F30024 1C92291C
	v_mfma_f32_16x16x32_fp8_fp8 v[36:39], a[30:31], a[22:23], v[36:39]// 000000002D64: D3F30024 1C922D1E
	v_mfma_f32_16x16x32_fp8_fp8 v[40:43], a[32:33], a[16:17], 0// 000000002D6C: D3F30028 1A022120
	v_mfma_f32_16x16x32_fp8_fp8 v[40:43], a[34:35], a[18:19], v[40:43]// 000000002D74: D3F30028 1CA22522
	v_mfma_f32_16x16x32_fp8_fp8 v[40:43], a[36:37], a[20:21], v[40:43]// 000000002D7C: D3F30028 1CA22924
	v_mfma_f32_16x16x32_fp8_fp8 v[40:43], a[38:39], a[22:23], v[40:43]// 000000002D84: D3F30028 1CA22D26
	v_mfma_f32_16x16x32_fp8_fp8 v[44:47], a[40:41], a[16:17], 0// 000000002D8C: D3F3002C 1A022128
	v_mfma_f32_16x16x32_fp8_fp8 v[44:47], a[42:43], a[18:19], v[44:47]// 000000002D94: D3F3002C 1CB2252A
	v_mfma_f32_16x16x32_fp8_fp8 v[44:47], a[44:45], a[20:21], v[44:47]// 000000002D9C: D3F3002C 1CB2292C
	v_mfma_f32_16x16x32_fp8_fp8 v[44:47], a[46:47], a[22:23], v[44:47]// 000000002DA4: D3F3002C 1CB22D2E
	v_mfma_f32_16x16x32_fp8_fp8 v[48:51], a[48:49], a[16:17], 0// 000000002DAC: D3F30030 1A022130
	v_mfma_f32_16x16x32_fp8_fp8 v[48:51], a[50:51], a[18:19], v[48:51]// 000000002DB4: D3F30030 1CC22532
	v_mfma_f32_16x16x32_fp8_fp8 v[48:51], a[52:53], a[20:21], v[48:51]// 000000002DBC: D3F30030 1CC22934
	v_mfma_f32_16x16x32_fp8_fp8 v[48:51], a[54:55], a[22:23], v[48:51]// 000000002DC4: D3F30030 1CC22D36
	s_waitcnt vmcnt(16)                                        // 000000002DCC: BF8C4F70
	v_or_b32_dpp v36, v44, v36 row_shr:8 row_mask:0xf bank_mask:0xf bound_ctrl:1// 000000002DD0: 284848FA FF09182C
	v_or_b32_dpp v37, v45, v37 row_shr:8 row_mask:0xf bank_mask:0xf bound_ctrl:1// 000000002DD8: 284A4AFA FF09182D
	v_or_b32_dpp v38, v46, v38 row_shr:8 row_mask:0xf bank_mask:0xf bound_ctrl:1// 000000002DE0: 284C4CFA FF09182E
	v_or_b32_dpp v39, v47, v39 row_shr:8 row_mask:0xf bank_mask:0xf bound_ctrl:1// 000000002DE8: 284E4EFA FF09182F
	v_or_b32_dpp v40, v48, v40 row_shr:8 row_mask:0xf bank_mask:0xf bound_ctrl:1// 000000002DF0: 285050FA FF091830
	v_or_b32_dpp v41, v49, v41 row_shr:8 row_mask:0xf bank_mask:0xf bound_ctrl:1// 000000002DF8: 285252FA FF091831
	v_or_b32_dpp v42, v50, v42 row_shr:8 row_mask:0xf bank_mask:0xf bound_ctrl:1// 000000002E00: 285454FA FF091832
	v_or_b32_dpp v43, v51, v43 row_shr:8 row_mask:0xf bank_mask:0xf bound_ctrl:1// 000000002E08: 285656FA FF091833
	v_mov_b32_dpp v168, v154 row_shr:4 row_mask:0xf bank_mask:0xf// 000000002E10: 7F5002FA FF01149A
	v_mov_b32_dpp v169, v154 row_shl:4 row_mask:0xf bank_mask:0xf// 000000002E18: 7F5202FA FF01049A
	v_cndmask_b32_e64 v164, v154, v168, s[90:91]               // 000000002E20: D10000A4 016B519A
	v_cndmask_b32_e64 v165, v169, v154, s[90:91]               // 000000002E28: D10000A5 016B35A9
	v_mov_b32_dpp v168, v156 row_shr:4 row_mask:0xf bank_mask:0xf// 000000002E30: 7F5002FA FF01149C
	v_mov_b32_dpp v169, v156 row_shl:4 row_mask:0xf bank_mask:0xf// 000000002E38: 7F5202FA FF01049C
	v_cndmask_b32_e64 v166, v156, v168, s[90:91]               // 000000002E40: D10000A6 016B519C
	v_cndmask_b32_e64 v167, v169, v156, s[90:91]               // 000000002E48: D10000A7 016B39A9
	v_pk_mul_f32 v[4:5], v[148:149], v[4:5]                    // 000000002E50: D3B14004 18020994
	v_pk_mul_f32 v[6:7], v[148:149], v[6:7]                    // 000000002E58: D3B14006 18020D94
	v_pk_mul_f32 v[8:9], v[148:149], v[8:9]                    // 000000002E60: D3B14008 18021194
	v_pk_mul_f32 v[10:11], v[148:149], v[10:11]                // 000000002E68: D3B1400A 18021594
	v_pk_mul_f32 v[12:13], v[148:149], v[12:13]                // 000000002E70: D3B1400C 18021994
	v_pk_mul_f32 v[14:15], v[148:149], v[14:15]                // 000000002E78: D3B1400E 18021D94
	v_pk_mul_f32 v[16:17], v[148:149], v[16:17]                // 000000002E80: D3B14010 18022194
	v_pk_mul_f32 v[18:19], v[148:149], v[18:19]                // 000000002E88: D3B14012 18022594
	v_mul_f32_dpp v4, v154, v4 row_newbcast:0 row_mask:0xf bank_mask:0xf// 000000002E90: 0A0808FA FF01509A
	v_mul_f32_dpp v5, v154, v5 row_newbcast:1 row_mask:0xf bank_mask:0xf// 000000002E98: 0A0A0AFA FF01519A
	v_mul_f32_dpp v6, v154, v6 row_newbcast:2 row_mask:0xf bank_mask:0xf// 000000002EA0: 0A0C0CFA FF01529A
	v_mul_f32_dpp v7, v154, v7 row_newbcast:3 row_mask:0xf bank_mask:0xf// 000000002EA8: 0A0E0EFA FF01539A
	v_mul_f32_dpp v8, v154, v8 row_newbcast:4 row_mask:0xf bank_mask:0xf// 000000002EB0: 0A1010FA FF01549A
	v_mul_f32_dpp v9, v154, v9 row_newbcast:5 row_mask:0xf bank_mask:0xf// 000000002EB8: 0A1212FA FF01559A
	v_mul_f32_dpp v10, v154, v10 row_newbcast:6 row_mask:0xf bank_mask:0xf// 000000002EC0: 0A1414FA FF01569A
	v_mul_f32_dpp v11, v154, v11 row_newbcast:7 row_mask:0xf bank_mask:0xf// 000000002EC8: 0A1616FA FF01579A
	v_mul_f32_dpp v12, v154, v12 row_newbcast:8 row_mask:0xf bank_mask:0xf// 000000002ED0: 0A1818FA FF01589A
	v_mul_f32_dpp v13, v154, v13 row_newbcast:9 row_mask:0xf bank_mask:0xf// 000000002ED8: 0A1A1AFA FF01599A
	v_mul_f32_dpp v14, v154, v14 row_newbcast:10 row_mask:0xf bank_mask:0xf// 000000002EE0: 0A1C1CFA FF015A9A
	v_mul_f32_dpp v15, v154, v15 row_newbcast:11 row_mask:0xf bank_mask:0xf// 000000002EE8: 0A1E1EFA FF015B9A
	v_mul_f32_dpp v16, v154, v16 row_newbcast:12 row_mask:0xf bank_mask:0xf// 000000002EF0: 0A2020FA FF015C9A
	v_mul_f32_dpp v17, v154, v17 row_newbcast:13 row_mask:0xf bank_mask:0xf// 000000002EF8: 0A2222FA FF015D9A
	v_mul_f32_dpp v18, v154, v18 row_newbcast:14 row_mask:0xf bank_mask:0xf// 000000002F00: 0A2424FA FF015E9A
	v_mul_f32_dpp v19, v154, v19 row_newbcast:15 row_mask:0xf bank_mask:0xf// 000000002F08: 0A2626FA FF015F9A
	v_pk_mul_f32 v[20:21], v[150:151], v[20:21]                // 000000002F10: D3B14014 18022996
	v_pk_mul_f32 v[22:23], v[150:151], v[22:23]                // 000000002F18: D3B14016 18022D96
	v_pk_mul_f32 v[24:25], v[150:151], v[24:25]                // 000000002F20: D3B14018 18023196
	v_pk_mul_f32 v[26:27], v[150:151], v[26:27]                // 000000002F28: D3B1401A 18023596
	v_pk_mul_f32 v[28:29], v[150:151], v[28:29]                // 000000002F30: D3B1401C 18023996
	v_pk_mul_f32 v[30:31], v[150:151], v[30:31]                // 000000002F38: D3B1401E 18023D96
	v_pk_mul_f32 v[32:33], v[150:151], v[32:33]                // 000000002F40: D3B14020 18024196
	v_pk_mul_f32 v[34:35], v[150:151], v[34:35]                // 000000002F48: D3B14022 18024596
	v_mul_f32_dpp v20, v154, v20 row_newbcast:0 row_mask:0xf bank_mask:0xf// 000000002F50: 0A2828FA FF01509A
	v_mul_f32_dpp v21, v154, v21 row_newbcast:1 row_mask:0xf bank_mask:0xf// 000000002F58: 0A2A2AFA FF01519A
	v_mul_f32_dpp v22, v154, v22 row_newbcast:2 row_mask:0xf bank_mask:0xf// 000000002F60: 0A2C2CFA FF01529A
	v_mul_f32_dpp v23, v154, v23 row_newbcast:3 row_mask:0xf bank_mask:0xf// 000000002F68: 0A2E2EFA FF01539A
	v_mul_f32_dpp v24, v154, v24 row_newbcast:4 row_mask:0xf bank_mask:0xf// 000000002F70: 0A3030FA FF01549A
	v_mul_f32_dpp v25, v154, v25 row_newbcast:5 row_mask:0xf bank_mask:0xf// 000000002F78: 0A3232FA FF01559A
	v_mul_f32_dpp v26, v154, v26 row_newbcast:6 row_mask:0xf bank_mask:0xf// 000000002F80: 0A3434FA FF01569A
	v_mul_f32_dpp v27, v154, v27 row_newbcast:7 row_mask:0xf bank_mask:0xf// 000000002F88: 0A3636FA FF01579A
	v_mul_f32_dpp v28, v154, v28 row_newbcast:8 row_mask:0xf bank_mask:0xf// 000000002F90: 0A3838FA FF01589A
	v_mul_f32_dpp v29, v154, v29 row_newbcast:9 row_mask:0xf bank_mask:0xf// 000000002F98: 0A3A3AFA FF01599A
	v_mul_f32_dpp v30, v154, v30 row_newbcast:10 row_mask:0xf bank_mask:0xf// 000000002FA0: 0A3C3CFA FF015A9A
	v_mul_f32_dpp v31, v154, v31 row_newbcast:11 row_mask:0xf bank_mask:0xf// 000000002FA8: 0A3E3EFA FF015B9A
	v_mul_f32_dpp v32, v154, v32 row_newbcast:12 row_mask:0xf bank_mask:0xf// 000000002FB0: 0A4040FA FF015C9A
	v_mul_f32_dpp v33, v154, v33 row_newbcast:13 row_mask:0xf bank_mask:0xf// 000000002FB8: 0A4242FA FF015D9A
	v_mul_f32_dpp v34, v154, v34 row_newbcast:14 row_mask:0xf bank_mask:0xf// 000000002FC0: 0A4444FA FF015E9A
	v_mul_f32_dpp v35, v154, v35 row_newbcast:15 row_mask:0xf bank_mask:0xf// 000000002FC8: 0A4646FA FF015F9A
	v_pk_mul_f32 v[36:37], v[152:153], v[36:37]                // 000000002FD0: D3B14024 18024998
	v_pk_mul_f32 v[38:39], v[152:153], v[38:39]                // 000000002FD8: D3B14026 18024D98
	v_pk_mul_f32 v[40:41], v[152:153], v[40:41]                // 000000002FE0: D3B14028 18025198
	v_pk_mul_f32 v[42:43], v[152:153], v[42:43]                // 000000002FE8: D3B1402A 18025598
	v_mul_f32_dpp v36, v164, v36 quad_perm:[0,0,0,0] row_mask:0xf bank_mask:0xf// 000000002FF0: 0A4848FA FF0000A4
	v_mul_f32_dpp v37, v164, v37 quad_perm:[1,1,1,1] row_mask:0xf bank_mask:0xf// 000000002FF8: 0A4A4AFA FF0055A4
	v_mul_f32_dpp v38, v164, v38 quad_perm:[2,2,2,2] row_mask:0xf bank_mask:0xf// 000000003000: 0A4C4CFA FF00AAA4
	v_mul_f32_dpp v39, v164, v39 quad_perm:[3,3,3,3] row_mask:0xf bank_mask:0xf// 000000003008: 0A4E4EFA FF00FFA4
	v_mul_f32_dpp v40, v165, v40 quad_perm:[0,0,0,0] row_mask:0xf bank_mask:0xf// 000000003010: 0A5050FA FF0000A5
	v_mul_f32_dpp v41, v165, v41 quad_perm:[1,1,1,1] row_mask:0xf bank_mask:0xf// 000000003018: 0A5252FA FF0055A5
	v_mul_f32_dpp v42, v165, v42 quad_perm:[2,2,2,2] row_mask:0xf bank_mask:0xf// 000000003020: 0A5454FA FF00AAA5
	v_mul_f32_dpp v43, v165, v43 quad_perm:[3,3,3,3] row_mask:0xf bank_mask:0xf// 000000003028: 0A5656FA FF00FFA5
	v_mov_b32_e32 v190, v36                                    // 000000003030: 7F7C0324
	v_max3_f32 v190, v36, v37, v190                            // 000000003034: D1D300BE 06FA4B24
	v_max3_f32 v190, v38, v39, v190                            // 00000000303C: D1D300BE 06FA4F26
	v_max3_f32 v190, v40, v41, v190                            // 000000003044: D1D300BE 06FA5328
	v_max3_f32 v190, v42, v43, v190                            // 00000000304C: D1D300BE 06FA572A
	v_mov_b32_e32 v189, v20                                    // 000000003054: 7F7A0314
	v_max3_f32 v189, v20, v21, v189                            // 000000003058: D1D300BD 06F62B14
	v_max3_f32 v189, v22, v23, v189                            // 000000003060: D1D300BD 06F62F16
	v_max3_f32 v189, v24, v25, v189                            // 000000003068: D1D300BD 06F63318
	v_max3_f32 v189, v26, v27, v189                            // 000000003070: D1D300BD 06F6371A
	v_max3_f32 v189, v28, v29, v189                            // 000000003078: D1D300BD 06F63B1C
	v_max3_f32 v189, v30, v31, v189                            // 000000003080: D1D300BD 06F63F1E
	v_max3_f32 v189, v32, v33, v189                            // 000000003088: D1D300BD 06F64320
	v_max3_f32 v189, v34, v35, v189                            // 000000003090: D1D300BD 06F64722
	v_mov_b32_e32 v188, v4                                     // 000000003098: 7F780304
	v_max3_f32 v188, v4, v5, v188                              // 00000000309C: D1D300BC 06F20B04
	v_max3_f32 v188, v6, v7, v188                              // 0000000030A4: D1D300BC 06F20F06
	v_max3_f32 v188, v8, v9, v188                              // 0000000030AC: D1D300BC 06F21308
	v_max3_f32 v188, v10, v11, v188                            // 0000000030B4: D1D300BC 06F2170A
	v_max3_f32 v188, v12, v13, v188                            // 0000000030BC: D1D300BC 06F21B0C
	v_max3_f32 v188, v14, v15, v188                            // 0000000030C4: D1D300BC 06F21F0E
	v_max3_f32 v188, v16, v17, v188                            // 0000000030CC: D1D300BC 06F22310
	v_max3_f32 v188, v18, v19, v188                            // 0000000030D4: D1D300BC 06F22712
	v_max_f32_dpp v190, v190, v190 row_ror:8 row_mask:0xf bank_mask:0xf// 0000000030DC: 177D7CFA FF0128BE
	ds_bpermute_b32 v172, v212, v188                           // 0000000030E4: D87E0000 AC00BCD4
	ds_bpermute_b32 v173, v213, v188                           // 0000000030EC: D87E0000 AD00BCD5
	ds_bpermute_b32 v174, v214, v188                           // 0000000030F4: D87E0000 AE00BCD6
	ds_bpermute_b32 v175, v212, v189                           // 0000000030FC: D87E0000 AF00BDD4
	ds_bpermute_b32 v176, v213, v189                           // 000000003104: D87E0000 B000BDD5
	ds_bpermute_b32 v177, v214, v189                           // 00000000310C: D87E0000 B100BDD6
	ds_bpermute_b32 v178, v212, v190                           // 000000003114: D87E0000 B200BED4
	ds_bpermute_b32 v179, v213, v190                           // 00000000311C: D87E0000 B300BED5
	ds_bpermute_b32 v180, v214, v190                           // 000000003124: D87E0000 B400BED6
	v_pk_mul_f32 v[124:125], v[200:201], v[124:125]            // 00000000312C: D3B1407C 1802F9C8
	v_pk_mul_f32 v[126:127], v[200:201], v[126:127]            // 000000003134: D3B1407E 1802FDC8
	v_pk_mul_f32 v[128:129], v[200:201], v[128:129]            // 00000000313C: D3B14080 180301C8
	v_pk_mul_f32 v[130:131], v[200:201], v[130:131]            // 000000003144: D3B14082 180305C8
	v_pk_mul_f32 v[132:133], v[202:203], v[132:133]            // 00000000314C: D3B14084 180309CA
	v_pk_mul_f32 v[134:135], v[202:203], v[134:135]            // 000000003154: D3B14086 18030DCA
	v_pk_mul_f32 v[136:137], v[202:203], v[136:137]            // 00000000315C: D3B14088 180311CA
	v_pk_mul_f32 v[138:139], v[202:203], v[138:139]            // 000000003164: D3B1408A 180315CA
	v_pk_mul_f32 v[140:141], v[204:205], v[140:141]            // 00000000316C: D3B1408C 180319CC
	v_pk_mul_f32 v[142:143], v[204:205], v[142:143]            // 000000003174: D3B1408E 18031DCC
	v_pk_mul_f32 v[144:145], v[204:205], v[144:145]            // 00000000317C: D3B14090 180321CC
	v_pk_mul_f32 v[146:147], v[204:205], v[146:147]            // 000000003184: D3B14092 180325CC
	s_waitcnt lgkmcnt(6)                                       // 00000000318C: BF8CC67F
	v_max3_f32 v188, v172, v173, v188                          // 000000003190: D1D300BC 06F35BAC
	v_max_f32_e32 v188, v174, v188                             // 000000003198: 177979AE
	s_waitcnt lgkmcnt(3)                                       // 00000000319C: BF8CC37F
	v_max3_f32 v189, v175, v176, v189                          // 0000000031A0: D1D300BD 06F761AF
	v_max_f32_e32 v189, v177, v189                             // 0000000031A8: 177B7BB1
	s_waitcnt lgkmcnt(0)                                       // 0000000031AC: BF8CC07F
	v_max3_f32 v190, v178, v179, v190                          // 0000000031B0: D1D300BE 06FB67B2
	v_max_f32_e32 v190, v180, v190                             // 0000000031B8: 177D7DB4
	ds_write_b128 v246, v[188:191]                             // 0000000031BC: D9BE0000 0000BCF6
	s_waitcnt lgkmcnt(0)                                       // 0000000031C4: BF8CC07F
	s_barrier                                                  // 0000000031C8: BF8A0000
	ds_read_b128 v[172:175], v247                              // 0000000031CC: D9FE0000 AC0000F7
	ds_read_b128 v[176:179], v247 offset:256                   // 0000000031D4: D9FE0100 B00000F7
	ds_read_b128 v[180:183], v247 offset:512                   // 0000000031DC: D9FE0200 B40000F7
	ds_read_b128 v[184:187], v247 offset:768                   // 0000000031E4: D9FE0300 B80000F7
	v_pk_mul_f32 v[100:101], v[158:159], v[100:101]            // 0000000031EC: D3B14064 1802C99E
	v_pk_mul_f32 v[102:103], v[158:159], v[102:103]            // 0000000031F4: D3B14066 1802CD9E
	v_pk_mul_f32 v[104:105], v[158:159], v[104:105]            // 0000000031FC: D3B14068 1802D19E
	v_pk_mul_f32 v[106:107], v[158:159], v[106:107]            // 000000003204: D3B1406A 1802D59E
	v_pk_mul_f32 v[108:109], v[160:161], v[108:109]            // 00000000320C: D3B1406C 1802D9A0
	v_pk_mul_f32 v[110:111], v[160:161], v[110:111]            // 000000003214: D3B1406E 1802DDA0
	v_pk_mul_f32 v[112:113], v[160:161], v[112:113]            // 00000000321C: D3B14070 1802E1A0
	v_pk_mul_f32 v[114:115], v[160:161], v[114:115]            // 000000003224: D3B14072 1802E5A0
	v_pk_mul_f32 v[116:117], v[162:163], v[116:117]            // 00000000322C: D3B14074 1802E9A2
	v_pk_mul_f32 v[118:119], v[162:163], v[118:119]            // 000000003234: D3B14076 1802EDA2
	v_pk_mul_f32 v[120:121], v[162:163], v[120:121]            // 00000000323C: D3B14078 1802F1A2
	v_pk_mul_f32 v[122:123], v[162:163], v[122:123]            // 000000003244: D3B1407A 1802F5A2
	s_waitcnt lgkmcnt(0)                                       // 00000000324C: BF8CC07F
	v_max3_f32 v188, v172, v176, v188                          // 000000003250: D1D300BC 06F361AC
	v_max3_f32 v189, v173, v177, v189                          // 000000003258: D1D300BD 06F763AD
	v_max3_f32 v190, v174, v178, v190                          // 000000003260: D1D300BE 06FB65AE
	v_max3_f32 v188, v180, v184, v188                          // 000000003268: D1D300BC 06F371B4
	v_max3_f32 v189, v181, v185, v189                          // 000000003270: D1D300BD 06F773B5
	v_max3_f32 v190, v182, v186, v190                          // 000000003278: D1D300BE 06FB75B6
	v_max_f32_e32 v197, v188, v194                             // 000000003280: 178B85BC
	v_mul_f32_e64 v168, -s51, v197                             // 000000003284: D10500A8 20038A33
	v_mov_b32_e32 v169, v168                                   // 00000000328C: 7F5203A8
	v_pk_fma_f32 v[4:5], v[4:5], s[86:87], v[168:169]          // 000000003290: D3B04004 1EA0AD04
	v_pk_fma_f32 v[6:7], v[6:7], s[86:87], v[168:169]          // 000000003298: D3B04006 1EA0AD06
	v_exp_f32_e32 v4, v4                                       // 0000000032A0: 7E084104
	v_exp_f32_e32 v5, v5                                       // 0000000032A4: 7E0A4105
	v_exp_f32_e32 v6, v6                                       // 0000000032A8: 7E0C4106
	v_exp_f32_e32 v7, v7                                       // 0000000032AC: 7E0E4107
	v_pk_fma_f32 v[8:9], v[8:9], s[86:87], v[168:169]          // 0000000032B0: D3B04008 1EA0AD08
	v_pk_fma_f32 v[10:11], v[10:11], s[86:87], v[168:169]      // 0000000032B8: D3B0400A 1EA0AD0A
	v_exp_f32_e32 v8, v8                                       // 0000000032C0: 7E104108
	v_exp_f32_e32 v9, v9                                       // 0000000032C4: 7E124109
	v_exp_f32_e32 v10, v10                                     // 0000000032C8: 7E14410A
	v_exp_f32_e32 v11, v11                                     // 0000000032CC: 7E16410B
	v_pk_fma_f32 v[12:13], v[12:13], s[86:87], v[168:169]      // 0000000032D0: D3B0400C 1EA0AD0C
	v_pk_fma_f32 v[14:15], v[14:15], s[86:87], v[168:169]      // 0000000032D8: D3B0400E 1EA0AD0E
	v_exp_f32_e32 v12, v12                                     // 0000000032E0: 7E18410C
	v_exp_f32_e32 v13, v13                                     // 0000000032E4: 7E1A410D
	v_exp_f32_e32 v14, v14                                     // 0000000032E8: 7E1C410E
	v_exp_f32_e32 v15, v15                                     // 0000000032EC: 7E1E410F
	v_pk_fma_f32 v[16:17], v[16:17], s[86:87], v[168:169]      // 0000000032F0: D3B04010 1EA0AD10
	v_pk_fma_f32 v[18:19], v[18:19], s[86:87], v[168:169]      // 0000000032F8: D3B04012 1EA0AD12
	v_exp_f32_e32 v16, v16                                     // 000000003300: 7E204110
	v_exp_f32_e32 v17, v17                                     // 000000003304: 7E224111
	v_exp_f32_e32 v18, v18                                     // 000000003308: 7E244112
	v_exp_f32_e32 v19, v19                                     // 00000000330C: 7E264113
	v_max_f32_e32 v198, v189, v195                             // 000000003310: 178D87BD
	v_mul_f32_e64 v168, -s51, v198                             // 000000003314: D10500A8 20038C33
	v_mov_b32_e32 v169, v168                                   // 00000000331C: 7F5203A8
	v_pk_fma_f32 v[20:21], v[20:21], s[86:87], v[168:169]      // 000000003320: D3B04014 1EA0AD14
	v_pk_fma_f32 v[22:23], v[22:23], s[86:87], v[168:169]      // 000000003328: D3B04016 1EA0AD16
	v_exp_f32_e32 v20, v20                                     // 000000003330: 7E284114
	v_exp_f32_e32 v21, v21                                     // 000000003334: 7E2A4115
	v_exp_f32_e32 v22, v22                                     // 000000003338: 7E2C4116
	v_exp_f32_e32 v23, v23                                     // 00000000333C: 7E2E4117
	v_pk_fma_f32 v[24:25], v[24:25], s[86:87], v[168:169]      // 000000003340: D3B04018 1EA0AD18
	v_pk_fma_f32 v[26:27], v[26:27], s[86:87], v[168:169]      // 000000003348: D3B0401A 1EA0AD1A
	v_exp_f32_e32 v24, v24                                     // 000000003350: 7E304118
	v_exp_f32_e32 v25, v25                                     // 000000003354: 7E324119
	v_exp_f32_e32 v26, v26                                     // 000000003358: 7E34411A
	v_exp_f32_e32 v27, v27                                     // 00000000335C: 7E36411B
	v_pk_fma_f32 v[28:29], v[28:29], s[86:87], v[168:169]      // 000000003360: D3B0401C 1EA0AD1C
	v_pk_fma_f32 v[30:31], v[30:31], s[86:87], v[168:169]      // 000000003368: D3B0401E 1EA0AD1E
	v_exp_f32_e32 v28, v28                                     // 000000003370: 7E38411C
	v_exp_f32_e32 v29, v29                                     // 000000003374: 7E3A411D
	v_exp_f32_e32 v30, v30                                     // 000000003378: 7E3C411E
	v_exp_f32_e32 v31, v31                                     // 00000000337C: 7E3E411F
	v_pk_fma_f32 v[32:33], v[32:33], s[86:87], v[168:169]      // 000000003380: D3B04020 1EA0AD20
	v_pk_fma_f32 v[34:35], v[34:35], s[86:87], v[168:169]      // 000000003388: D3B04022 1EA0AD22
	v_exp_f32_e32 v32, v32                                     // 000000003390: 7E404120
	v_exp_f32_e32 v33, v33                                     // 000000003394: 7E424121
	v_exp_f32_e32 v34, v34                                     // 000000003398: 7E444122
	v_exp_f32_e32 v35, v35                                     // 00000000339C: 7E464123
	v_max_f32_e32 v199, v190, v196                             // 0000000033A0: 178F89BE
	v_mul_f32_e64 v168, -s51, v199                             // 0000000033A4: D10500A8 20038E33
	v_mov_b32_e32 v169, v168                                   // 0000000033AC: 7F5203A8
	v_pk_fma_f32 v[36:37], v[36:37], s[86:87], v[168:169]      // 0000000033B0: D3B04024 1EA0AD24
	v_pk_fma_f32 v[38:39], v[38:39], s[86:87], v[168:169]      // 0000000033B8: D3B04026 1EA0AD26
	v_exp_f32_e32 v36, v36                                     // 0000000033C0: 7E484124
	v_exp_f32_e32 v37, v37                                     // 0000000033C4: 7E4A4125
	v_exp_f32_e32 v38, v38                                     // 0000000033C8: 7E4C4126
	v_exp_f32_e32 v39, v39                                     // 0000000033CC: 7E4E4127
	v_pk_fma_f32 v[40:41], v[40:41], s[86:87], v[168:169]      // 0000000033D0: D3B04028 1EA0AD28
	v_pk_fma_f32 v[42:43], v[42:43], s[86:87], v[168:169]      // 0000000033D8: D3B0402A 1EA0AD2A
	v_exp_f32_e32 v40, v40                                     // 0000000033E0: 7E504128
	v_exp_f32_e32 v41, v41                                     // 0000000033E4: 7E524129
	v_exp_f32_e32 v42, v42                                     // 0000000033E8: 7E54412A
	v_exp_f32_e32 v43, v43                                     // 0000000033EC: 7E56412B
	v_mul_f32_dpp v52, v156, v4 row_newbcast:0 row_mask:0xf bank_mask:0xf// 0000000033F0: 0A6808FA FF01509C
	v_mul_f32_dpp v53, v156, v5 row_newbcast:1 row_mask:0xf bank_mask:0xf// 0000000033F8: 0A6A0AFA FF01519C
	v_mul_f32_dpp v54, v156, v6 row_newbcast:2 row_mask:0xf bank_mask:0xf// 000000003400: 0A6C0CFA FF01529C
	v_mul_f32_dpp v55, v156, v7 row_newbcast:3 row_mask:0xf bank_mask:0xf// 000000003408: 0A6E0EFA FF01539C
	v_mul_f32_dpp v56, v156, v8 row_newbcast:4 row_mask:0xf bank_mask:0xf// 000000003410: 0A7010FA FF01549C
	v_mul_f32_dpp v57, v156, v9 row_newbcast:5 row_mask:0xf bank_mask:0xf// 000000003418: 0A7212FA FF01559C
	v_mul_f32_dpp v58, v156, v10 row_newbcast:6 row_mask:0xf bank_mask:0xf// 000000003420: 0A7414FA FF01569C
	v_mul_f32_dpp v59, v156, v11 row_newbcast:7 row_mask:0xf bank_mask:0xf// 000000003428: 0A7616FA FF01579C
	v_mul_f32_dpp v60, v156, v12 row_newbcast:8 row_mask:0xf bank_mask:0xf// 000000003430: 0A7818FA FF01589C
	v_mul_f32_dpp v61, v156, v13 row_newbcast:9 row_mask:0xf bank_mask:0xf// 000000003438: 0A7A1AFA FF01599C
	v_mul_f32_dpp v62, v156, v14 row_newbcast:10 row_mask:0xf bank_mask:0xf// 000000003440: 0A7C1CFA FF015A9C
	v_mul_f32_dpp v63, v156, v15 row_newbcast:11 row_mask:0xf bank_mask:0xf// 000000003448: 0A7E1EFA FF015B9C
	v_mul_f32_dpp v64, v156, v16 row_newbcast:12 row_mask:0xf bank_mask:0xf// 000000003450: 0A8020FA FF015C9C
	v_mul_f32_dpp v65, v156, v17 row_newbcast:13 row_mask:0xf bank_mask:0xf// 000000003458: 0A8222FA FF015D9C
	v_mul_f32_dpp v66, v156, v18 row_newbcast:14 row_mask:0xf bank_mask:0xf// 000000003460: 0A8424FA FF015E9C
	v_mul_f32_dpp v67, v156, v19 row_newbcast:15 row_mask:0xf bank_mask:0xf// 000000003468: 0A8626FA FF015F9C
	v_mul_f32_dpp v68, v156, v20 row_newbcast:0 row_mask:0xf bank_mask:0xf// 000000003470: 0A8828FA FF01509C
	v_mul_f32_dpp v69, v156, v21 row_newbcast:1 row_mask:0xf bank_mask:0xf// 000000003478: 0A8A2AFA FF01519C
	v_mul_f32_dpp v70, v156, v22 row_newbcast:2 row_mask:0xf bank_mask:0xf// 000000003480: 0A8C2CFA FF01529C
	v_mul_f32_dpp v71, v156, v23 row_newbcast:3 row_mask:0xf bank_mask:0xf// 000000003488: 0A8E2EFA FF01539C
	v_mul_f32_dpp v72, v156, v24 row_newbcast:4 row_mask:0xf bank_mask:0xf// 000000003490: 0A9030FA FF01549C
	v_mul_f32_dpp v73, v156, v25 row_newbcast:5 row_mask:0xf bank_mask:0xf// 000000003498: 0A9232FA FF01559C
	v_mul_f32_dpp v74, v156, v26 row_newbcast:6 row_mask:0xf bank_mask:0xf// 0000000034A0: 0A9434FA FF01569C
	v_mul_f32_dpp v75, v156, v27 row_newbcast:7 row_mask:0xf bank_mask:0xf// 0000000034A8: 0A9636FA FF01579C
	v_mul_f32_dpp v76, v156, v28 row_newbcast:8 row_mask:0xf bank_mask:0xf// 0000000034B0: 0A9838FA FF01589C
	v_mul_f32_dpp v77, v156, v29 row_newbcast:9 row_mask:0xf bank_mask:0xf// 0000000034B8: 0A9A3AFA FF01599C
	v_mul_f32_dpp v78, v156, v30 row_newbcast:10 row_mask:0xf bank_mask:0xf// 0000000034C0: 0A9C3CFA FF015A9C
	v_mul_f32_dpp v79, v156, v31 row_newbcast:11 row_mask:0xf bank_mask:0xf// 0000000034C8: 0A9E3EFA FF015B9C
	v_mul_f32_dpp v80, v156, v32 row_newbcast:12 row_mask:0xf bank_mask:0xf// 0000000034D0: 0AA040FA FF015C9C
	v_mul_f32_dpp v81, v156, v33 row_newbcast:13 row_mask:0xf bank_mask:0xf// 0000000034D8: 0AA242FA FF015D9C
	v_mul_f32_dpp v82, v156, v34 row_newbcast:14 row_mask:0xf bank_mask:0xf// 0000000034E0: 0AA444FA FF015E9C
	v_mul_f32_dpp v83, v156, v35 row_newbcast:15 row_mask:0xf bank_mask:0xf// 0000000034E8: 0AA646FA FF015F9C
	v_mul_f32_dpp v84, v166, v36 quad_perm:[0,0,0,0] row_mask:0xf bank_mask:0xf// 0000000034F0: 0AA848FA FF0000A6
	v_mul_f32_dpp v85, v166, v37 quad_perm:[1,1,1,1] row_mask:0xf bank_mask:0xf// 0000000034F8: 0AAA4AFA FF0055A6
	v_mul_f32_dpp v86, v166, v38 quad_perm:[2,2,2,2] row_mask:0xf bank_mask:0xf// 000000003500: 0AAC4CFA FF00AAA6
	v_mul_f32_dpp v87, v166, v39 quad_perm:[3,3,3,3] row_mask:0xf bank_mask:0xf// 000000003508: 0AAE4EFA FF00FFA6
	v_mul_f32_dpp v88, v167, v40 quad_perm:[0,0,0,0] row_mask:0xf bank_mask:0xf// 000000003510: 0AB050FA FF0000A7
	v_mul_f32_dpp v89, v167, v41 quad_perm:[1,1,1,1] row_mask:0xf bank_mask:0xf// 000000003518: 0AB252FA FF0055A7
	v_mul_f32_dpp v90, v167, v42 quad_perm:[2,2,2,2] row_mask:0xf bank_mask:0xf// 000000003520: 0AB454FA FF00AAA7
	v_mul_f32_dpp v91, v167, v43 quad_perm:[3,3,3,3] row_mask:0xf bank_mask:0xf// 000000003528: 0AB656FA FF00FFA7
	v_mov_b32_e32 v190, 0x358637bd                             // 000000003530: 7F7C02FF 358637BD
	v_max3_f32 v190, |v84|, |v85|, v190                        // 000000003538: D1D303BE 06FAAB54
	v_max3_f32 v190, |v86|, |v87|, v190                        // 000000003540: D1D303BE 06FAAF56
	v_max3_f32 v190, |v88|, |v89|, v190                        // 000000003548: D1D303BE 06FAB358
	v_max3_f32 v190, |v90|, |v91|, v190                        // 000000003550: D1D303BE 06FAB75A
	v_mov_b32_e32 v189, 0x358637bd                             // 000000003558: 7F7A02FF 358637BD
	v_max3_f32 v189, |v68|, |v69|, v189                        // 000000003560: D1D303BD 06F68B44
	v_max3_f32 v189, |v70|, |v71|, v189                        // 000000003568: D1D303BD 06F68F46
	v_max3_f32 v189, |v72|, |v73|, v189                        // 000000003570: D1D303BD 06F69348
	v_max3_f32 v189, |v74|, |v75|, v189                        // 000000003578: D1D303BD 06F6974A
	v_max3_f32 v189, |v76|, |v77|, v189                        // 000000003580: D1D303BD 06F69B4C
	v_max3_f32 v189, |v78|, |v79|, v189                        // 000000003588: D1D303BD 06F69F4E
	v_max3_f32 v189, |v80|, |v81|, v189                        // 000000003590: D1D303BD 06F6A350
	v_max3_f32 v189, |v82|, |v83|, v189                        // 000000003598: D1D303BD 06F6A752
	v_mov_b32_e32 v188, 0x358637bd                             // 0000000035A0: 7F7802FF 358637BD
	v_max3_f32 v188, |v52|, |v53|, v188                        // 0000000035A8: D1D303BC 06F26B34
	v_max3_f32 v188, |v54|, |v55|, v188                        // 0000000035B0: D1D303BC 06F26F36
	v_max3_f32 v188, |v56|, |v57|, v188                        // 0000000035B8: D1D303BC 06F27338
	v_max3_f32 v188, |v58|, |v59|, v188                        // 0000000035C0: D1D303BC 06F2773A
	v_max3_f32 v188, |v60|, |v61|, v188                        // 0000000035C8: D1D303BC 06F27B3C
	v_max3_f32 v188, |v62|, |v63|, v188                        // 0000000035D0: D1D303BC 06F27F3E
	v_max3_f32 v188, |v64|, |v65|, v188                        // 0000000035D8: D1D303BC 06F28340
	v_max3_f32 v188, |v66|, |v67|, v188                        // 0000000035E0: D1D303BC 06F28742
	v_max_f32_dpp v190, v190, v190 row_ror:8 row_mask:0xf bank_mask:0xf// 0000000035E8: 177D7CFA FF0128BE
	ds_bpermute_b32 v172, v212, v188                           // 0000000035F0: D87E0000 AC00BCD4
	ds_bpermute_b32 v173, v213, v188                           // 0000000035F8: D87E0000 AD00BCD5
	ds_bpermute_b32 v174, v214, v188                           // 000000003600: D87E0000 AE00BCD6
	ds_bpermute_b32 v175, v212, v189                           // 000000003608: D87E0000 AF00BDD4
	ds_bpermute_b32 v176, v213, v189                           // 000000003610: D87E0000 B000BDD5
	ds_bpermute_b32 v177, v214, v189                           // 000000003618: D87E0000 B100BDD6
	ds_bpermute_b32 v178, v212, v190                           // 000000003620: D87E0000 B200BED4
	ds_bpermute_b32 v179, v213, v190                           // 000000003628: D87E0000 B300BED5
	ds_bpermute_b32 v180, v214, v190                           // 000000003630: D87E0000 B400BED6
	s_waitcnt lgkmcnt(6)                                       // 000000003638: BF8CC67F
	v_max3_f32 v188, v172, v173, v188                          // 00000000363C: D1D300BC 06F35BAC
	v_max_f32_e32 v188, v174, v188                             // 000000003644: 177979AE
	s_waitcnt lgkmcnt(3)                                       // 000000003648: BF8CC37F
	v_max3_f32 v189, v175, v176, v189                          // 00000000364C: D1D300BD 06F761AF
	v_max_f32_e32 v189, v177, v189                             // 000000003654: 177B7BB1
	s_waitcnt lgkmcnt(0)                                       // 000000003658: BF8CC07F
	v_max3_f32 v190, v178, v179, v190                          // 00000000365C: D1D300BE 06FB67B2
	v_max_f32_e32 v190, v180, v190                             // 000000003664: 177D7DB4
	ds_write_b128 v246, v[188:191] offset:4096                 // 000000003668: D9BE1000 0000BCF6
	buffer_load_dword v155, v238, s[28:31], 0 offen            // 000000003670: E0501000 80079BEE
	v_sub_f32_e32 v200, v194, v197                             // 000000003678: 05918BC2
	v_cmp_eq_u32_e64 s[84:85], v225, v194                      // 00000000367C: D0CA0054 000385E1
	v_cndmask_b32_e64 v200, v200, 0, s[84:85]                  // 000000003684: D10000C8 015101C8
	v_mov_b32_e32 v194, v197                                   // 00000000368C: 7F8403C5
	v_mul_f32_e32 v200, s51, v200                              // 000000003690: 0B919033
	v_exp_f32_e32 v200, v200                                   // 000000003694: 7F9041C8
	v_sub_f32_e32 v202, v195, v198                             // 000000003698: 05958DC3
	v_cmp_eq_u32_e64 s[84:85], v225, v195                      // 00000000369C: D0CA0054 000387E1
	v_cndmask_b32_e64 v202, v202, 0, s[84:85]                  // 0000000036A4: D10000CA 015101CA
	v_mov_b32_e32 v195, v198                                   // 0000000036AC: 7F8603C6
	v_mul_f32_e32 v202, s51, v202                              // 0000000036B0: 0B959433
	v_exp_f32_e32 v202, v202                                   // 0000000036B4: 7F9441CA
	v_sub_f32_e32 v204, v196, v199                             // 0000000036B8: 05998FC4
	v_cmp_eq_u32_e64 s[84:85], v225, v196                      // 0000000036BC: D0CA0054 000389E1
	v_cndmask_b32_e64 v204, v204, 0, s[84:85]                  // 0000000036C4: D10000CC 015101CC
	v_mov_b32_e32 v196, v199                                   // 0000000036CC: 7F8803C7
	v_mul_f32_e32 v204, s51, v204                              // 0000000036D0: 0B999833
	v_exp_f32_e32 v204, v204                                   // 0000000036D4: 7F9841CC
	v_mov_b32_e32 v201, v200                                   // 0000000036D8: 7F9203C8
	v_mov_b32_e32 v203, v202                                   // 0000000036DC: 7F9603CA
	v_mov_b32_e32 v205, v204                                   // 0000000036E0: 7F9A03CC
	s_waitcnt lgkmcnt(0)                                       // 0000000036E4: BF8CC07F
	s_barrier                                                  // 0000000036E8: BF8A0000
	ds_read_b128 v[172:175], v247 offset:4096                  // 0000000036EC: D9FE1000 AC0000F7
	ds_read_b128 v[176:179], v247 offset:4352                  // 0000000036F4: D9FE1100 B00000F7
	ds_read_b128 v[180:183], v247 offset:4608                  // 0000000036FC: D9FE1200 B40000F7
	ds_read_b128 v[184:187], v247 offset:4864                  // 000000003704: D9FE1300 B80000F7
	buffer_load_dword v157, v239, s[32:35], 0 offen            // 00000000370C: E0501000 80089DEF
	v_mul_f32_e32 v206, v200, v206                             // 000000003714: 0B9D9DC8
	v_mov_b32_e32 v207, 0                                      // 000000003718: 7F9E0280
	v_pk_add_f32 v[206:207], v[4:5], v[206:207]                // 00000000371C: D3B240CE 18039D04
	v_pk_add_f32 v[206:207], v[6:7], v[206:207]                // 000000003724: D3B240CE 18039D06
	v_pk_add_f32 v[206:207], v[8:9], v[206:207]                // 00000000372C: D3B240CE 18039D08
	v_pk_add_f32 v[206:207], v[10:11], v[206:207]              // 000000003734: D3B240CE 18039D0A
	v_pk_add_f32 v[206:207], v[12:13], v[206:207]              // 00000000373C: D3B240CE 18039D0C
	v_pk_add_f32 v[206:207], v[14:15], v[206:207]              // 000000003744: D3B240CE 18039D0E
	v_pk_add_f32 v[206:207], v[16:17], v[206:207]              // 00000000374C: D3B240CE 18039D10
	v_pk_add_f32 v[206:207], v[18:19], v[206:207]              // 000000003754: D3B240CE 18039D12
	v_add_f32_e32 v206, v207, v206                             // 00000000375C: 039D9DCF
	v_mul_f32_e32 v208, v202, v208                             // 000000003760: 0BA1A1CA
	v_mov_b32_e32 v209, 0                                      // 000000003764: 7FA20280
	v_pk_add_f32 v[208:209], v[20:21], v[208:209]              // 000000003768: D3B240D0 1803A114
	v_pk_add_f32 v[208:209], v[22:23], v[208:209]              // 000000003770: D3B240D0 1803A116
	v_pk_add_f32 v[208:209], v[24:25], v[208:209]              // 000000003778: D3B240D0 1803A118
	v_pk_add_f32 v[208:209], v[26:27], v[208:209]              // 000000003780: D3B240D0 1803A11A
	v_pk_add_f32 v[208:209], v[28:29], v[208:209]              // 000000003788: D3B240D0 1803A11C
	v_pk_add_f32 v[208:209], v[30:31], v[208:209]              // 000000003790: D3B240D0 1803A11E
	v_pk_add_f32 v[208:209], v[32:33], v[208:209]              // 000000003798: D3B240D0 1803A120
	v_pk_add_f32 v[208:209], v[34:35], v[208:209]              // 0000000037A0: D3B240D0 1803A122
	v_add_f32_e32 v208, v209, v208                             // 0000000037A8: 03A1A1D1
	v_mul_f32_e32 v210, v204, v210                             // 0000000037AC: 0BA5A5CC
	v_mov_b32_e32 v211, 0                                      // 0000000037B0: 7FA60280
	v_pk_add_f32 v[210:211], v[36:37], v[210:211]              // 0000000037B4: D3B240D2 1803A524
	v_pk_add_f32 v[210:211], v[38:39], v[210:211]              // 0000000037BC: D3B240D2 1803A526
	v_pk_add_f32 v[210:211], v[40:41], v[210:211]              // 0000000037C4: D3B240D2 1803A528
	v_pk_add_f32 v[210:211], v[42:43], v[210:211]              // 0000000037CC: D3B240D2 1803A52A
	v_add_f32_e32 v210, v211, v210                             // 0000000037D4: 03A5A5D3
	s_waitcnt lgkmcnt(0)                                       // 0000000037D8: BF8CC07F
	v_max3_f32 v188, v172, v176, v188                          // 0000000037DC: D1D300BC 06F361AC
	v_max3_f32 v189, v173, v177, v189                          // 0000000037E4: D1D300BD 06F763AD
	v_max3_f32 v190, v174, v178, v190                          // 0000000037EC: D1D300BE 06FB65AE
	v_max3_f32 v188, v180, v184, v188                          // 0000000037F4: D1D300BC 06F371B4
	v_max3_f32 v189, v181, v185, v189                          // 0000000037FC: D1D300BD 06F773B5
	v_max3_f32 v190, v182, v186, v190                          // 000000003804: D1D300BE 06FB75B6
	v_rcp_f32_e32 v188, v188                                   // 00000000380C: 7F7845BC
	v_rcp_f32_e32 v189, v189                                   // 000000003810: 7F7A45BD
	v_rcp_f32_e32 v190, v190                                   // 000000003814: 7F7C45BE
	v_mul_f32_e32 v188, 0x43700000, v188                       // 000000003818: 0B7978FF 43700000
	v_mul_f32_e32 v189, 0x43700000, v189                       // 000000003820: 0B7B7AFF 43700000
	v_mul_f32_e32 v190, 0x43700000, v190                       // 000000003828: 0B7D7CFF 43700000
	v_mov_b32_e32 v192, v190                                   // 000000003830: 7F8003BE
	v_mov_b32_e32 v193, v190                                   // 000000003834: 7F8203BE
	v_mov_b32_e32 v190, v189                                   // 000000003838: 7F7C03BD
	v_mov_b32_e32 v191, v189                                   // 00000000383C: 7F7E03BD
	v_mov_b32_e32 v189, v188                                   // 000000003840: 7F7A03BC
	v_pk_mul_f32 v[4:5], v[188:189], v[52:53]                  // 000000003844: D3B14004 180269BC
	v_pk_mul_f32 v[6:7], v[188:189], v[54:55]                  // 00000000384C: D3B14006 18026DBC
	v_pk_mul_f32 v[8:9], v[188:189], v[56:57]                  // 000000003854: D3B14008 180271BC
	v_pk_mul_f32 v[10:11], v[188:189], v[58:59]                // 00000000385C: D3B1400A 180275BC
	v_pk_mul_f32 v[12:13], v[188:189], v[60:61]                // 000000003864: D3B1400C 180279BC
	v_pk_mul_f32 v[14:15], v[188:189], v[62:63]                // 00000000386C: D3B1400E 18027DBC
	v_pk_mul_f32 v[16:17], v[188:189], v[64:65]                // 000000003874: D3B14010 180281BC
	v_pk_mul_f32 v[18:19], v[188:189], v[66:67]                // 00000000387C: D3B14012 180285BC
	v_pk_mul_f32 v[20:21], v[190:191], v[68:69]                // 000000003884: D3B14014 180289BE
	v_pk_mul_f32 v[22:23], v[190:191], v[70:71]                // 00000000388C: D3B14016 18028DBE
	v_pk_mul_f32 v[24:25], v[190:191], v[72:73]                // 000000003894: D3B14018 180291BE
	v_pk_mul_f32 v[26:27], v[190:191], v[74:75]                // 00000000389C: D3B1401A 180295BE
	v_pk_mul_f32 v[28:29], v[190:191], v[76:77]                // 0000000038A4: D3B1401C 180299BE
	v_pk_mul_f32 v[30:31], v[190:191], v[78:79]                // 0000000038AC: D3B1401E 18029DBE
	v_pk_mul_f32 v[32:33], v[190:191], v[80:81]                // 0000000038B4: D3B14020 1802A1BE
	v_pk_mul_f32 v[34:35], v[190:191], v[82:83]                // 0000000038BC: D3B14022 1802A5BE
	v_pk_mul_f32 v[36:37], v[192:193], v[84:85]                // 0000000038C4: D3B14024 1802A9C0
	v_pk_mul_f32 v[38:39], v[192:193], v[86:87]                // 0000000038CC: D3B14026 1802ADC0
	v_pk_mul_f32 v[40:41], v[192:193], v[88:89]                // 0000000038D4: D3B14028 1802B1C0
	v_pk_mul_f32 v[42:43], v[192:193], v[90:91]                // 0000000038DC: D3B1402A 1802B5C0
	v_cvt_pk_fp8_f32 v4, v4, v5                                // 0000000038E4: D2A20004 00020B04
	v_cvt_pk_fp8_f32 v4, v6, v7 op_sel:[0,0,1]                 // 0000000038EC: D2A24004 00020F06
	v_cvt_pk_fp8_f32 v5, v8, v9                                // 0000000038F4: D2A20005 00021308
	v_cvt_pk_fp8_f32 v5, v10, v11 op_sel:[0,0,1]               // 0000000038FC: D2A24005 0002170A
	v_cvt_pk_fp8_f32 v6, v12, v13                              // 000000003904: D2A20006 00021B0C
	v_cvt_pk_fp8_f32 v6, v14, v15 op_sel:[0,0,1]               // 00000000390C: D2A24006 00021F0E
	v_cvt_pk_fp8_f32 v7, v16, v17                              // 000000003914: D2A20007 00022310
	v_cvt_pk_fp8_f32 v7, v18, v19 op_sel:[0,0,1]               // 00000000391C: D2A24007 00022712
	v_cvt_pk_fp8_f32 v8, v20, v21                              // 000000003924: D2A20008 00022B14
	v_cvt_pk_fp8_f32 v8, v22, v23 op_sel:[0,0,1]               // 00000000392C: D2A24008 00022F16
	v_cvt_pk_fp8_f32 v9, v24, v25                              // 000000003934: D2A20009 00023318
	v_cvt_pk_fp8_f32 v9, v26, v27 op_sel:[0,0,1]               // 00000000393C: D2A24009 0002371A
	v_cvt_pk_fp8_f32 v10, v28, v29                             // 000000003944: D2A2000A 00023B1C
	v_cvt_pk_fp8_f32 v10, v30, v31 op_sel:[0,0,1]              // 00000000394C: D2A2400A 00023F1E
	v_cvt_pk_fp8_f32 v11, v32, v33                             // 000000003954: D2A2000B 00024320
	v_cvt_pk_fp8_f32 v11, v34, v35 op_sel:[0,0,1]              // 00000000395C: D2A2400B 00024722
	v_cvt_pk_fp8_f32 v12, v36, v37                             // 000000003964: D2A2000C 00024B24
	v_cvt_pk_fp8_f32 v12, v38, v39 op_sel:[0,0,1]              // 00000000396C: D2A2400C 00024F26
	v_cvt_pk_fp8_f32 v13, v40, v41                             // 000000003974: D2A2000D 00025328
	v_cvt_pk_fp8_f32 v13, v42, v43 op_sel:[0,0,1]              // 00000000397C: D2A2400D 0002572A
	v_mov_b32_dpp v14, v12 row_shl:8 row_mask:0xf bank_mask:0xf bound_ctrl:1// 000000003984: 7E1C02FA FF09080C
	v_and_b32_e32 v12, v12, v224                               // 00000000398C: 2619C10C
	v_mov_b32_dpp v15, v13 row_shl:8 row_mask:0xf bank_mask:0xf bound_ctrl:1// 000000003990: 7E1E02FA FF09080D
	v_and_b32_e32 v13, v13, v224                               // 000000003998: 261BC10D
	ds_write_b32 v248, v4 offset:8192                          // 00000000399C: D81A2000 000004F8
	ds_write_b32 v248, v5 offset:9216                          // 0000000039A4: D81A2400 000005F8
	ds_write_b32 v248, v6 offset:10240                         // 0000000039AC: D81A2800 000006F8
	ds_write_b32 v248, v7 offset:11264                         // 0000000039B4: D81A2C00 000007F8
	ds_write_b32 v248, v8 offset:12288                         // 0000000039BC: D81A3000 000008F8
	ds_write_b32 v248, v9 offset:13312                         // 0000000039C4: D81A3400 000009F8
	ds_write_b32 v248, v10 offset:14336                        // 0000000039CC: D81A3800 00000AF8
	ds_write_b32 v248, v11 offset:15360                        // 0000000039D4: D81A3C00 00000BF8
	ds_write_b32 v248, v12 offset:16384                        // 0000000039DC: D81A4000 00000CF8
	ds_write_b32 v248, v13 offset:17408                        // 0000000039E4: D81A4400 00000DF8
	ds_write_b32 v248, v14 offset:18432                        // 0000000039EC: D81A4800 00000EF8
	ds_write_b32 v248, v15 offset:19456                        // 0000000039F4: D81A4C00 00000FF8
	v_rcp_f32_e32 v158, v188                                   // 0000000039FC: 7F3C45BC
	v_rcp_f32_e32 v160, v190                                   // 000000003A00: 7F4045BE
	v_rcp_f32_e32 v162, v192                                   // 000000003A04: 7F4445C0
	v_mov_b32_e32 v159, v158                                   // 000000003A08: 7F3E039E
	v_mov_b32_e32 v161, v160                                   // 000000003A0C: 7F4203A0
	v_mov_b32_e32 v163, v162                                   // 000000003A10: 7F4603A2
	v_pk_add_f32 v[124:125], v[124:125], v[100:101]            // 000000003A14: D3B2407C 1802C97C
	v_pk_add_f32 v[126:127], v[126:127], v[102:103]            // 000000003A1C: D3B2407E 1802CD7E
	v_pk_add_f32 v[128:129], v[128:129], v[104:105]            // 000000003A24: D3B24080 1802D180
	v_pk_add_f32 v[130:131], v[130:131], v[106:107]            // 000000003A2C: D3B24082 1802D582
	v_pk_add_f32 v[132:133], v[132:133], v[108:109]            // 000000003A34: D3B24084 1802D984
	v_pk_add_f32 v[134:135], v[134:135], v[110:111]            // 000000003A3C: D3B24086 1802DD86
	v_pk_add_f32 v[136:137], v[136:137], v[112:113]            // 000000003A44: D3B24088 1802E188
	v_pk_add_f32 v[138:139], v[138:139], v[114:115]            // 000000003A4C: D3B2408A 1802E58A
	v_pk_add_f32 v[140:141], v[140:141], v[116:117]            // 000000003A54: D3B2408C 1802E98C
	v_pk_add_f32 v[142:143], v[142:143], v[118:119]            // 000000003A5C: D3B2408E 1802ED8E
	v_pk_add_f32 v[144:145], v[144:145], v[120:121]            // 000000003A64: D3B24090 1802F190
	v_pk_add_f32 v[146:147], v[146:147], v[122:123]            // 000000003A6C: D3B24092 1802F592
	s_waitcnt lgkmcnt(0)                                       // 000000003A74: BF8CC07F
	s_barrier                                                  // 000000003A78: BF8A0000
	ds_read_b128 v[4:7], v249 offset:8192                      // 000000003A7C: D9FE2000 040000F9
	ds_read_b128 v[8:11], v249 offset:9216                     // 000000003A84: D9FE2400 080000F9
	ds_read_b128 v[12:15], v249 offset:10240                   // 000000003A8C: D9FE2800 0C0000F9
	ds_read_b128 v[16:19], v249 offset:11264                   // 000000003A94: D9FE2C00 100000F9
	ds_read_b128 v[20:23], v249 offset:12288                   // 000000003A9C: D9FE3000 140000F9
	ds_read_b128 v[24:27], v249 offset:13312                   // 000000003AA4: D9FE3400 180000F9
	ds_read_b128 v[28:31], v249 offset:14336                   // 000000003AAC: D9FE3800 1C0000F9
	ds_read_b128 v[32:35], v249 offset:15360                   // 000000003AB4: D9FE3C00 200000F9
	ds_read_b128 v[36:39], v249 offset:16384                   // 000000003ABC: D9FE4000 240000F9
	ds_read_b128 v[40:43], v249 offset:17408                   // 000000003AC4: D9FE4400 280000F9
	ds_read_b128 v[44:47], v249 offset:18432                   // 000000003ACC: D9FE4800 2C0000F9
	ds_read_b128 v[48:51], v249 offset:19456                   // 000000003AD4: D9FE4C00 300000F9
	s_waitcnt vmcnt(10)                                        // 000000003ADC: BF8C0F7A
	s_waitcnt lgkmcnt(11)                                      // 000000003AE0: BF8CCB7F
	v_mfma_f32_16x16x32_fp8_fp8 v[100:103], a[88:89], v[4:5], 0// 000000003AE4: D3F30064 0A020958
	s_addk_i32 s62, 0x1                                        // 000000003AEC: B73E0001
	v_mfma_f32_16x16x32_fp8_fp8 v[104:107], a[104:105], v[4:5], 0// 000000003AF0: D3F30068 0A020968
	s_cmp_lt_u32 s62, s52                                      // 000000003AF8: BF0A343E
	s_cselect_b32 s63, 4, 0                                    // 000000003AFC: 853F8084
	v_mfma_f32_16x16x32_fp8_fp8 v[100:103], a[90:91], v[6:7], v[100:103]// 000000003B00: D3F30064 0D920D5A
	buffer_load_dwordx4 a[120:123], v234, s[16:19], 0 offen    // 000000003B08: E05C1000 808478EA
	v_mfma_f32_16x16x32_fp8_fp8 v[104:107], a[106:107], v[6:7], v[104:107]// 000000003B10: D3F30068 0DA20D6A
	s_add_u32 s20, s20, s63                                    // 000000003B18: 80143F14
	s_addc_u32 s21, s21, 0                                     // 000000003B1C: 82158015
	s_waitcnt lgkmcnt(10)                                      // 000000003B20: BF8CCA7F
	v_mfma_f32_16x16x32_fp8_fp8 v[100:103], a[92:93], v[8:9], v[100:103]// 000000003B24: D3F30064 0D92115C
	v_mfma_f32_16x16x32_fp8_fp8 v[104:107], a[108:109], v[8:9], v[104:107]// 000000003B2C: D3F30068 0DA2116C
	v_mfma_f32_16x16x32_fp8_fp8 v[100:103], a[94:95], v[10:11], v[100:103]// 000000003B34: D3F30064 0D92155E
	buffer_load_dwordx4 a[124:127], v235, s[16:19], 0 offen    // 000000003B3C: E05C1000 80847CEB
	v_mfma_f32_16x16x32_fp8_fp8 v[104:107], a[110:111], v[10:11], v[104:107]// 000000003B44: D3F30068 0DA2156E
	s_waitcnt lgkmcnt(9)                                       // 000000003B4C: BF8CC97F
	v_mfma_f32_16x16x32_fp8_fp8 v[100:103], a[96:97], v[12:13], v[100:103]// 000000003B50: D3F30064 0D921960
	v_mfma_f32_16x16x32_fp8_fp8 v[104:107], a[112:113], v[12:13], v[104:107]// 000000003B58: D3F30068 0DA21970
	v_mfma_f32_16x16x32_fp8_fp8 v[100:103], a[98:99], v[14:15], v[100:103]// 000000003B60: D3F30064 0D921D62
	buffer_load_dwordx4 a[128:131], v236, s[16:19], 0 offen    // 000000003B68: E05C1000 808480EC
	v_mfma_f32_16x16x32_fp8_fp8 v[104:107], a[114:115], v[14:15], v[104:107]// 000000003B70: D3F30068 0DA21D72
	s_waitcnt lgkmcnt(8)                                       // 000000003B78: BF8CC87F
	v_mfma_f32_16x16x32_fp8_fp8 v[100:103], a[100:101], v[16:17], v[100:103]// 000000003B7C: D3F30064 0D922164
	v_mfma_f32_16x16x32_fp8_fp8 v[104:107], a[116:117], v[16:17], v[104:107]// 000000003B84: D3F30068 0DA22174
	v_mfma_f32_16x16x32_fp8_fp8 v[100:103], a[102:103], v[18:19], v[100:103]// 000000003B8C: D3F30064 0D922566
	buffer_load_dwordx4 a[132:135], v237, s[16:19], 0 offen    // 000000003B94: E05C1000 808484ED
	v_mfma_f32_16x16x32_fp8_fp8 v[104:107], a[118:119], v[18:19], v[104:107]// 000000003B9C: D3F30068 0DA22576
	s_waitcnt lgkmcnt(7)                                       // 000000003BA4: BF8CC77F
	v_mfma_f32_16x16x32_fp8_fp8 v[108:111], a[88:89], v[20:21], 0// 000000003BA8: D3F3006C 0A022958
	v_mfma_f32_16x16x32_fp8_fp8 v[112:115], a[104:105], v[20:21], 0// 000000003BB0: D3F30070 0A022968
	v_mfma_f32_16x16x32_fp8_fp8 v[108:111], a[90:91], v[22:23], v[108:111]// 000000003BB8: D3F3006C 0DB22D5A
	buffer_load_dwordx4 a[136:139], v234, s[16:19], 0 offen offset:1024// 000000003BC0: E05C1400 808488EA
	v_mfma_f32_16x16x32_fp8_fp8 v[112:115], a[106:107], v[22:23], v[112:115]// 000000003BC8: D3F30070 0DC22D6A
	s_waitcnt lgkmcnt(6)                                       // 000000003BD0: BF8CC67F
	v_mfma_f32_16x16x32_fp8_fp8 v[108:111], a[92:93], v[24:25], v[108:111]// 000000003BD4: D3F3006C 0DB2315C
	v_mfma_f32_16x16x32_fp8_fp8 v[112:115], a[108:109], v[24:25], v[112:115]// 000000003BDC: D3F30070 0DC2316C
	v_mfma_f32_16x16x32_fp8_fp8 v[108:111], a[94:95], v[26:27], v[108:111]// 000000003BE4: D3F3006C 0DB2355E
	buffer_load_dwordx4 a[140:143], v235, s[16:19], 0 offen offset:1024// 000000003BEC: E05C1400 80848CEB
	v_mfma_f32_16x16x32_fp8_fp8 v[112:115], a[110:111], v[26:27], v[112:115]// 000000003BF4: D3F30070 0DC2356E
	s_waitcnt lgkmcnt(5)                                       // 000000003BFC: BF8CC57F
	v_mfma_f32_16x16x32_fp8_fp8 v[108:111], a[96:97], v[28:29], v[108:111]// 000000003C00: D3F3006C 0DB23960
	v_mfma_f32_16x16x32_fp8_fp8 v[112:115], a[112:113], v[28:29], v[112:115]// 000000003C08: D3F30070 0DC23970
	v_mfma_f32_16x16x32_fp8_fp8 v[108:111], a[98:99], v[30:31], v[108:111]// 000000003C10: D3F3006C 0DB23D62
	buffer_load_dwordx4 a[144:147], v236, s[16:19], 0 offen offset:1024// 000000003C18: E05C1400 808490EC
	v_mfma_f32_16x16x32_fp8_fp8 v[112:115], a[114:115], v[30:31], v[112:115]// 000000003C20: D3F30070 0DC23D72
	s_waitcnt lgkmcnt(4)                                       // 000000003C28: BF8CC47F
	v_mfma_f32_16x16x32_fp8_fp8 v[108:111], a[100:101], v[32:33], v[108:111]// 000000003C2C: D3F3006C 0DB24164
	v_mfma_f32_16x16x32_fp8_fp8 v[112:115], a[116:117], v[32:33], v[112:115]// 000000003C34: D3F30070 0DC24174
	v_mfma_f32_16x16x32_fp8_fp8 v[108:111], a[102:103], v[34:35], v[108:111]// 000000003C3C: D3F3006C 0DB24566
	buffer_load_dwordx4 a[148:151], v237, s[16:19], 0 offen offset:1024// 000000003C44: E05C1400 808494ED
	v_mfma_f32_16x16x32_fp8_fp8 v[112:115], a[118:119], v[34:35], v[112:115]// 000000003C4C: D3F30070 0DC24576
	s_waitcnt lgkmcnt(3)                                       // 000000003C54: BF8CC37F
	v_mfma_f32_16x16x32_fp8_fp8 v[116:119], a[88:89], v[36:37], 0// 000000003C58: D3F30074 0A024958
	v_mfma_f32_16x16x32_fp8_fp8 v[120:123], a[104:105], v[36:37], 0// 000000003C60: D3F30078 0A024968
	v_mfma_f32_16x16x32_fp8_fp8 v[116:119], a[90:91], v[38:39], v[116:119]// 000000003C68: D3F30074 0DD24D5A
	v_mfma_f32_16x16x32_fp8_fp8 v[120:123], a[106:107], v[38:39], v[120:123]// 000000003C70: D3F30078 0DE24D6A
	s_waitcnt lgkmcnt(2)                                       // 000000003C78: BF8CC27F
	v_mfma_f32_16x16x32_fp8_fp8 v[116:119], a[92:93], v[40:41], v[116:119]// 000000003C7C: D3F30074 0DD2515C
	v_mfma_f32_16x16x32_fp8_fp8 v[120:123], a[108:109], v[40:41], v[120:123]// 000000003C84: D3F30078 0DE2516C
	v_mfma_f32_16x16x32_fp8_fp8 v[116:119], a[94:95], v[42:43], v[116:119]// 000000003C8C: D3F30074 0DD2555E
	v_mfma_f32_16x16x32_fp8_fp8 v[120:123], a[110:111], v[42:43], v[120:123]// 000000003C94: D3F30078 0DE2556E
	s_waitcnt lgkmcnt(1)                                       // 000000003C9C: BF8CC17F
	v_mfma_f32_16x16x32_fp8_fp8 v[116:119], a[96:97], v[44:45], v[116:119]// 000000003CA0: D3F30074 0DD25960
	v_mfma_f32_16x16x32_fp8_fp8 v[120:123], a[112:113], v[44:45], v[120:123]// 000000003CA8: D3F30078 0DE25970
	v_mfma_f32_16x16x32_fp8_fp8 v[116:119], a[98:99], v[46:47], v[116:119]// 000000003CB0: D3F30074 0DD25D62
	v_mfma_f32_16x16x32_fp8_fp8 v[120:123], a[114:115], v[46:47], v[120:123]// 000000003CB8: D3F30078 0DE25D72
	s_waitcnt lgkmcnt(0)                                       // 000000003CC0: BF8CC07F
	v_mfma_f32_16x16x32_fp8_fp8 v[116:119], a[100:101], v[48:49], v[116:119]// 000000003CC4: D3F30074 0DD26164
	v_mfma_f32_16x16x32_fp8_fp8 v[120:123], a[116:117], v[48:49], v[120:123]// 000000003CCC: D3F30078 0DE26174
	v_mfma_f32_16x16x32_fp8_fp8 v[116:119], a[102:103], v[50:51], v[116:119]// 000000003CD4: D3F30074 0DD26566
	v_mfma_f32_16x16x32_fp8_fp8 v[120:123], a[118:119], v[50:51], v[120:123]// 000000003CDC: D3F30078 0DE26576
	s_load_dword s61, s[20:21], 0x0                            // 000000003CE4: C0020F4A 00000000
	s_addk_i32 s49, 0x100                                      // 000000003CEC: B7310100
	s_cmp_lt_i32 s49, s50                                      // 000000003CF0: BF043231
	s_cbranch_scc0 label_2A2A                                  // 000000003CF4: BF84232C
	s_waitcnt vmcnt(10)                                        // 000000003CF8: BF8C0F7A
	v_mfma_f32_16x16x32_fp8_fp8 v[4:7], a[56:57], a[0:1], 0    // 000000003CFC: D3F30004 1A020138
	s_add_u32 s12, s76, s64                                    // 000000003D04: 800C404C
	s_addc_u32 s13, s77, 0                                     // 000000003D08: 820D804D
	v_mfma_f32_16x16x32_fp8_fp8 v[4:7], a[58:59], a[2:3], v[4:7]// 000000003D0C: D3F30004 1C12053A
	s_add_u32 s16, s78, s65                                    // 000000003D14: 8010414E
	s_addc_u32 s17, s79, 0                                     // 000000003D18: 8211804F
	v_mfma_f32_16x16x32_fp8_fp8 v[4:7], a[60:61], a[4:5], v[4:7]// 000000003D1C: D3F30004 1C12093C
	buffer_load_dwordx4 a[24:27], v232, s[12:15], 0 offen      // 000000003D24: E05C1000 808318E8
	v_mfma_f32_16x16x32_fp8_fp8 v[4:7], a[62:63], a[6:7], v[4:7]// 000000003D2C: D3F30004 1C120D3E
	s_add_u32 s28, s80, s66                                    // 000000003D34: 801C4250
	s_addc_u32 s29, s81, 0                                     // 000000003D38: 821D8051
	v_mfma_f32_16x16x32_fp8_fp8 v[8:11], a[64:65], a[0:1], 0   // 000000003D3C: D3F30008 1A020140
	s_add_u32 s32, s82, s66                                    // 000000003D44: 80204252
	s_addc_u32 s33, s83, 0                                     // 000000003D48: 82218053
	v_mfma_f32_16x16x32_fp8_fp8 v[8:11], a[66:67], a[2:3], v[8:11]// 000000003D4C: D3F30008 1C220542
	s_add_u32 s64, s64, 0x1000                                 // 000000003D54: 8040FF40 00001000
	s_add_u32 s65, s65, 0x8000                                 // 000000003D5C: 8041FF41 00008000
	v_mfma_f32_16x16x32_fp8_fp8 v[8:11], a[68:69], a[4:5], v[8:11]// 000000003D64: D3F30008 1C220944
	buffer_load_dwordx4 a[28:31], v233, s[12:15], 0 offen      // 000000003D6C: E05C1000 80831CE9
	v_mfma_f32_16x16x32_fp8_fp8 v[8:11], a[70:71], a[6:7], v[8:11]// 000000003D74: D3F30008 1C220D46
	s_add_u32 s66, s66, 0x400                                  // 000000003D7C: 8042FF42 00000400
	v_mfma_f32_16x16x32_fp8_fp8 v[12:15], a[72:73], a[0:1], 0  // 000000003D84: D3F3000C 1A020148
	v_mfma_f32_16x16x32_fp8_fp8 v[12:15], a[74:75], a[2:3], v[12:15]// 000000003D8C: D3F3000C 1C32054A
	v_mfma_f32_16x16x32_fp8_fp8 v[12:15], a[76:77], a[4:5], v[12:15]// 000000003D94: D3F3000C 1C32094C
	buffer_load_dwordx4 a[32:35], v232, s[12:15], 0 offen offset:1024// 000000003D9C: E05C1400 808320E8
	v_mfma_f32_16x16x32_fp8_fp8 v[12:15], a[78:79], a[6:7], v[12:15]// 000000003DA4: D3F3000C 1C320D4E
	v_mfma_f32_16x16x32_fp8_fp8 v[16:19], a[80:81], a[0:1], 0  // 000000003DAC: D3F30010 1A020150
	v_mfma_f32_16x16x32_fp8_fp8 v[16:19], a[82:83], a[2:3], v[16:19]// 000000003DB4: D3F30010 1C420552
	v_mfma_f32_16x16x32_fp8_fp8 v[16:19], a[84:85], a[4:5], v[16:19]// 000000003DBC: D3F30010 1C420954
	buffer_load_dwordx4 a[36:39], v233, s[12:15], 0 offen offset:1024// 000000003DC4: E05C1400 808324E9
	v_mfma_f32_16x16x32_fp8_fp8 v[16:19], a[86:87], a[6:7], v[16:19]// 000000003DCC: D3F30010 1C420D56
	v_mfma_f32_16x16x32_fp8_fp8 v[20:23], a[56:57], a[8:9], 0  // 000000003DD4: D3F30014 1A021138
	v_mfma_f32_16x16x32_fp8_fp8 v[20:23], a[58:59], a[10:11], v[20:23]// 000000003DDC: D3F30014 1C52153A
	v_mfma_f32_16x16x32_fp8_fp8 v[20:23], a[60:61], a[12:13], v[20:23]// 000000003DE4: D3F30014 1C52193C
	buffer_load_dwordx4 a[40:43], v232, s[12:15], 0 offen offset:2048// 000000003DEC: E05C1800 808328E8
	v_mfma_f32_16x16x32_fp8_fp8 v[20:23], a[62:63], a[14:15], v[20:23]// 000000003DF4: D3F30014 1C521D3E
	v_mfma_f32_16x16x32_fp8_fp8 v[24:27], a[64:65], a[8:9], 0  // 000000003DFC: D3F30018 1A021140
	v_mfma_f32_16x16x32_fp8_fp8 v[24:27], a[66:67], a[10:11], v[24:27]// 000000003E04: D3F30018 1C621542
	v_mfma_f32_16x16x32_fp8_fp8 v[24:27], a[68:69], a[12:13], v[24:27]// 000000003E0C: D3F30018 1C621944
	buffer_load_dwordx4 a[44:47], v233, s[12:15], 0 offen offset:2048// 000000003E14: E05C1800 80832CE9
	v_mfma_f32_16x16x32_fp8_fp8 v[24:27], a[70:71], a[14:15], v[24:27]// 000000003E1C: D3F30018 1C621D46
	v_mfma_f32_16x16x32_fp8_fp8 v[28:31], a[72:73], a[8:9], 0  // 000000003E24: D3F3001C 1A021148
	v_mfma_f32_16x16x32_fp8_fp8 v[28:31], a[74:75], a[10:11], v[28:31]// 000000003E2C: D3F3001C 1C72154A
	v_mfma_f32_16x16x32_fp8_fp8 v[28:31], a[76:77], a[12:13], v[28:31]// 000000003E34: D3F3001C 1C72194C
	buffer_load_dwordx4 a[48:51], v232, s[12:15], 0 offen offset:3072// 000000003E3C: E05C1C00 808330E8
	v_mfma_f32_16x16x32_fp8_fp8 v[28:31], a[78:79], a[14:15], v[28:31]// 000000003E44: D3F3001C 1C721D4E
	v_mfma_f32_16x16x32_fp8_fp8 v[32:35], a[80:81], a[8:9], 0  // 000000003E4C: D3F30020 1A021150
	v_mfma_f32_16x16x32_fp8_fp8 v[32:35], a[82:83], a[10:11], v[32:35]// 000000003E54: D3F30020 1C821552
	v_mfma_f32_16x16x32_fp8_fp8 v[32:35], a[84:85], a[12:13], v[32:35]// 000000003E5C: D3F30020 1C821954
	buffer_load_dwordx4 a[52:55], v233, s[12:15], 0 offen offset:3072// 000000003E64: E05C1C00 808334E9
	v_mfma_f32_16x16x32_fp8_fp8 v[32:35], a[86:87], a[14:15], v[32:35]// 000000003E6C: D3F30020 1C821D56
	v_mfma_f32_16x16x32_fp8_fp8 v[36:39], a[56:57], a[16:17], 0// 000000003E74: D3F30024 1A022138
	v_mfma_f32_16x16x32_fp8_fp8 v[36:39], a[58:59], a[18:19], v[36:39]// 000000003E7C: D3F30024 1C92253A
	v_mfma_f32_16x16x32_fp8_fp8 v[36:39], a[60:61], a[20:21], v[36:39]// 000000003E84: D3F30024 1C92293C
	v_mfma_f32_16x16x32_fp8_fp8 v[36:39], a[62:63], a[22:23], v[36:39]// 000000003E8C: D3F30024 1C922D3E
	v_mfma_f32_16x16x32_fp8_fp8 v[40:43], a[64:65], a[16:17], 0// 000000003E94: D3F30028 1A022140
	v_mfma_f32_16x16x32_fp8_fp8 v[40:43], a[66:67], a[18:19], v[40:43]// 000000003E9C: D3F30028 1CA22542
	v_mfma_f32_16x16x32_fp8_fp8 v[40:43], a[68:69], a[20:21], v[40:43]// 000000003EA4: D3F30028 1CA22944
	v_mfma_f32_16x16x32_fp8_fp8 v[40:43], a[70:71], a[22:23], v[40:43]// 000000003EAC: D3F30028 1CA22D46
	v_mfma_f32_16x16x32_fp8_fp8 v[44:47], a[72:73], a[16:17], 0// 000000003EB4: D3F3002C 1A022148
	v_mfma_f32_16x16x32_fp8_fp8 v[44:47], a[74:75], a[18:19], v[44:47]// 000000003EBC: D3F3002C 1CB2254A
	v_mfma_f32_16x16x32_fp8_fp8 v[44:47], a[76:77], a[20:21], v[44:47]// 000000003EC4: D3F3002C 1CB2294C
	v_mfma_f32_16x16x32_fp8_fp8 v[44:47], a[78:79], a[22:23], v[44:47]// 000000003ECC: D3F3002C 1CB22D4E
	v_mfma_f32_16x16x32_fp8_fp8 v[48:51], a[80:81], a[16:17], 0// 000000003ED4: D3F30030 1A022150
	v_mfma_f32_16x16x32_fp8_fp8 v[48:51], a[82:83], a[18:19], v[48:51]// 000000003EDC: D3F30030 1CC22552
	v_mfma_f32_16x16x32_fp8_fp8 v[48:51], a[84:85], a[20:21], v[48:51]// 000000003EE4: D3F30030 1CC22954
	v_mfma_f32_16x16x32_fp8_fp8 v[48:51], a[86:87], a[22:23], v[48:51]// 000000003EEC: D3F30030 1CC22D56
	s_waitcnt vmcnt(16)                                        // 000000003EF4: BF8C4F70
	v_or_b32_dpp v36, v44, v36 row_shr:8 row_mask:0xf bank_mask:0xf bound_ctrl:1// 000000003EF8: 284848FA FF09182C
	v_or_b32_dpp v37, v45, v37 row_shr:8 row_mask:0xf bank_mask:0xf bound_ctrl:1// 000000003F00: 284A4AFA FF09182D
	v_or_b32_dpp v38, v46, v38 row_shr:8 row_mask:0xf bank_mask:0xf bound_ctrl:1// 000000003F08: 284C4CFA FF09182E
	v_or_b32_dpp v39, v47, v39 row_shr:8 row_mask:0xf bank_mask:0xf bound_ctrl:1// 000000003F10: 284E4EFA FF09182F
	v_or_b32_dpp v40, v48, v40 row_shr:8 row_mask:0xf bank_mask:0xf bound_ctrl:1// 000000003F18: 285050FA FF091830
	v_or_b32_dpp v41, v49, v41 row_shr:8 row_mask:0xf bank_mask:0xf bound_ctrl:1// 000000003F20: 285252FA FF091831
	v_or_b32_dpp v42, v50, v42 row_shr:8 row_mask:0xf bank_mask:0xf bound_ctrl:1// 000000003F28: 285454FA FF091832
	v_or_b32_dpp v43, v51, v43 row_shr:8 row_mask:0xf bank_mask:0xf bound_ctrl:1// 000000003F30: 285656FA FF091833
	v_mov_b32_dpp v168, v155 row_shr:4 row_mask:0xf bank_mask:0xf// 000000003F38: 7F5002FA FF01149B
	v_mov_b32_dpp v169, v155 row_shl:4 row_mask:0xf bank_mask:0xf// 000000003F40: 7F5202FA FF01049B
	v_cndmask_b32_e64 v164, v155, v168, s[90:91]               // 000000003F48: D10000A4 016B519B
	v_cndmask_b32_e64 v165, v169, v155, s[90:91]               // 000000003F50: D10000A5 016B37A9
	v_mov_b32_dpp v168, v157 row_shr:4 row_mask:0xf bank_mask:0xf// 000000003F58: 7F5002FA FF01149D
	v_mov_b32_dpp v169, v157 row_shl:4 row_mask:0xf bank_mask:0xf// 000000003F60: 7F5202FA FF01049D
	v_cndmask_b32_e64 v166, v157, v168, s[90:91]               // 000000003F68: D10000A6 016B519D
	v_cndmask_b32_e64 v167, v169, v157, s[90:91]               // 000000003F70: D10000A7 016B3BA9
	v_pk_mul_f32 v[4:5], v[148:149], v[4:5]                    // 000000003F78: D3B14004 18020994
	v_pk_mul_f32 v[6:7], v[148:149], v[6:7]                    // 000000003F80: D3B14006 18020D94
	v_pk_mul_f32 v[8:9], v[148:149], v[8:9]                    // 000000003F88: D3B14008 18021194
	v_pk_mul_f32 v[10:11], v[148:149], v[10:11]                // 000000003F90: D3B1400A 18021594
	v_pk_mul_f32 v[12:13], v[148:149], v[12:13]                // 000000003F98: D3B1400C 18021994
	v_pk_mul_f32 v[14:15], v[148:149], v[14:15]                // 000000003FA0: D3B1400E 18021D94
	v_pk_mul_f32 v[16:17], v[148:149], v[16:17]                // 000000003FA8: D3B14010 18022194
	v_pk_mul_f32 v[18:19], v[148:149], v[18:19]                // 000000003FB0: D3B14012 18022594
	v_mul_f32_dpp v4, v155, v4 row_newbcast:0 row_mask:0xf bank_mask:0xf// 000000003FB8: 0A0808FA FF01509B
	v_mul_f32_dpp v5, v155, v5 row_newbcast:1 row_mask:0xf bank_mask:0xf// 000000003FC0: 0A0A0AFA FF01519B
	v_mul_f32_dpp v6, v155, v6 row_newbcast:2 row_mask:0xf bank_mask:0xf// 000000003FC8: 0A0C0CFA FF01529B
	v_mul_f32_dpp v7, v155, v7 row_newbcast:3 row_mask:0xf bank_mask:0xf// 000000003FD0: 0A0E0EFA FF01539B
	v_mul_f32_dpp v8, v155, v8 row_newbcast:4 row_mask:0xf bank_mask:0xf// 000000003FD8: 0A1010FA FF01549B
	v_mul_f32_dpp v9, v155, v9 row_newbcast:5 row_mask:0xf bank_mask:0xf// 000000003FE0: 0A1212FA FF01559B
	v_mul_f32_dpp v10, v155, v10 row_newbcast:6 row_mask:0xf bank_mask:0xf// 000000003FE8: 0A1414FA FF01569B
	v_mul_f32_dpp v11, v155, v11 row_newbcast:7 row_mask:0xf bank_mask:0xf// 000000003FF0: 0A1616FA FF01579B
	v_mul_f32_dpp v12, v155, v12 row_newbcast:8 row_mask:0xf bank_mask:0xf// 000000003FF8: 0A1818FA FF01589B
	v_mul_f32_dpp v13, v155, v13 row_newbcast:9 row_mask:0xf bank_mask:0xf// 000000004000: 0A1A1AFA FF01599B
	v_mul_f32_dpp v14, v155, v14 row_newbcast:10 row_mask:0xf bank_mask:0xf// 000000004008: 0A1C1CFA FF015A9B
	v_mul_f32_dpp v15, v155, v15 row_newbcast:11 row_mask:0xf bank_mask:0xf// 000000004010: 0A1E1EFA FF015B9B
	v_mul_f32_dpp v16, v155, v16 row_newbcast:12 row_mask:0xf bank_mask:0xf// 000000004018: 0A2020FA FF015C9B
	v_mul_f32_dpp v17, v155, v17 row_newbcast:13 row_mask:0xf bank_mask:0xf// 000000004020: 0A2222FA FF015D9B
	v_mul_f32_dpp v18, v155, v18 row_newbcast:14 row_mask:0xf bank_mask:0xf// 000000004028: 0A2424FA FF015E9B
	v_mul_f32_dpp v19, v155, v19 row_newbcast:15 row_mask:0xf bank_mask:0xf// 000000004030: 0A2626FA FF015F9B
	v_pk_mul_f32 v[20:21], v[150:151], v[20:21]                // 000000004038: D3B14014 18022996
	v_pk_mul_f32 v[22:23], v[150:151], v[22:23]                // 000000004040: D3B14016 18022D96
	v_pk_mul_f32 v[24:25], v[150:151], v[24:25]                // 000000004048: D3B14018 18023196
	v_pk_mul_f32 v[26:27], v[150:151], v[26:27]                // 000000004050: D3B1401A 18023596
	v_pk_mul_f32 v[28:29], v[150:151], v[28:29]                // 000000004058: D3B1401C 18023996
	v_pk_mul_f32 v[30:31], v[150:151], v[30:31]                // 000000004060: D3B1401E 18023D96
	v_pk_mul_f32 v[32:33], v[150:151], v[32:33]                // 000000004068: D3B14020 18024196
	v_pk_mul_f32 v[34:35], v[150:151], v[34:35]                // 000000004070: D3B14022 18024596
	v_mul_f32_dpp v20, v155, v20 row_newbcast:0 row_mask:0xf bank_mask:0xf// 000000004078: 0A2828FA FF01509B
	v_mul_f32_dpp v21, v155, v21 row_newbcast:1 row_mask:0xf bank_mask:0xf// 000000004080: 0A2A2AFA FF01519B
	v_mul_f32_dpp v22, v155, v22 row_newbcast:2 row_mask:0xf bank_mask:0xf// 000000004088: 0A2C2CFA FF01529B
	v_mul_f32_dpp v23, v155, v23 row_newbcast:3 row_mask:0xf bank_mask:0xf// 000000004090: 0A2E2EFA FF01539B
	v_mul_f32_dpp v24, v155, v24 row_newbcast:4 row_mask:0xf bank_mask:0xf// 000000004098: 0A3030FA FF01549B
	v_mul_f32_dpp v25, v155, v25 row_newbcast:5 row_mask:0xf bank_mask:0xf// 0000000040A0: 0A3232FA FF01559B
	v_mul_f32_dpp v26, v155, v26 row_newbcast:6 row_mask:0xf bank_mask:0xf// 0000000040A8: 0A3434FA FF01569B
	v_mul_f32_dpp v27, v155, v27 row_newbcast:7 row_mask:0xf bank_mask:0xf// 0000000040B0: 0A3636FA FF01579B
	v_mul_f32_dpp v28, v155, v28 row_newbcast:8 row_mask:0xf bank_mask:0xf// 0000000040B8: 0A3838FA FF01589B
	v_mul_f32_dpp v29, v155, v29 row_newbcast:9 row_mask:0xf bank_mask:0xf// 0000000040C0: 0A3A3AFA FF01599B
	v_mul_f32_dpp v30, v155, v30 row_newbcast:10 row_mask:0xf bank_mask:0xf// 0000000040C8: 0A3C3CFA FF015A9B
	v_mul_f32_dpp v31, v155, v31 row_newbcast:11 row_mask:0xf bank_mask:0xf// 0000000040D0: 0A3E3EFA FF015B9B
	v_mul_f32_dpp v32, v155, v32 row_newbcast:12 row_mask:0xf bank_mask:0xf// 0000000040D8: 0A4040FA FF015C9B
	v_mul_f32_dpp v33, v155, v33 row_newbcast:13 row_mask:0xf bank_mask:0xf// 0000000040E0: 0A4242FA FF015D9B
	v_mul_f32_dpp v34, v155, v34 row_newbcast:14 row_mask:0xf bank_mask:0xf// 0000000040E8: 0A4444FA FF015E9B
	v_mul_f32_dpp v35, v155, v35 row_newbcast:15 row_mask:0xf bank_mask:0xf// 0000000040F0: 0A4646FA FF015F9B
	v_pk_mul_f32 v[36:37], v[152:153], v[36:37]                // 0000000040F8: D3B14024 18024998
	v_pk_mul_f32 v[38:39], v[152:153], v[38:39]                // 000000004100: D3B14026 18024D98
	v_pk_mul_f32 v[40:41], v[152:153], v[40:41]                // 000000004108: D3B14028 18025198
	v_pk_mul_f32 v[42:43], v[152:153], v[42:43]                // 000000004110: D3B1402A 18025598
	v_mul_f32_dpp v36, v164, v36 quad_perm:[0,0,0,0] row_mask:0xf bank_mask:0xf// 000000004118: 0A4848FA FF0000A4
	v_mul_f32_dpp v37, v164, v37 quad_perm:[1,1,1,1] row_mask:0xf bank_mask:0xf// 000000004120: 0A4A4AFA FF0055A4
	v_mul_f32_dpp v38, v164, v38 quad_perm:[2,2,2,2] row_mask:0xf bank_mask:0xf// 000000004128: 0A4C4CFA FF00AAA4
	v_mul_f32_dpp v39, v164, v39 quad_perm:[3,3,3,3] row_mask:0xf bank_mask:0xf// 000000004130: 0A4E4EFA FF00FFA4
	v_mul_f32_dpp v40, v165, v40 quad_perm:[0,0,0,0] row_mask:0xf bank_mask:0xf// 000000004138: 0A5050FA FF0000A5
	v_mul_f32_dpp v41, v165, v41 quad_perm:[1,1,1,1] row_mask:0xf bank_mask:0xf// 000000004140: 0A5252FA FF0055A5
	v_mul_f32_dpp v42, v165, v42 quad_perm:[2,2,2,2] row_mask:0xf bank_mask:0xf// 000000004148: 0A5454FA FF00AAA5
	v_mul_f32_dpp v43, v165, v43 quad_perm:[3,3,3,3] row_mask:0xf bank_mask:0xf// 000000004150: 0A5656FA FF00FFA5
	v_mov_b32_e32 v190, v36                                    // 000000004158: 7F7C0324
	v_max3_f32 v190, v36, v37, v190                            // 00000000415C: D1D300BE 06FA4B24
	v_max3_f32 v190, v38, v39, v190                            // 000000004164: D1D300BE 06FA4F26
	v_max3_f32 v190, v40, v41, v190                            // 00000000416C: D1D300BE 06FA5328
	v_max3_f32 v190, v42, v43, v190                            // 000000004174: D1D300BE 06FA572A
	v_mov_b32_e32 v189, v20                                    // 00000000417C: 7F7A0314
	v_max3_f32 v189, v20, v21, v189                            // 000000004180: D1D300BD 06F62B14
	v_max3_f32 v189, v22, v23, v189                            // 000000004188: D1D300BD 06F62F16
	v_max3_f32 v189, v24, v25, v189                            // 000000004190: D1D300BD 06F63318
	v_max3_f32 v189, v26, v27, v189                            // 000000004198: D1D300BD 06F6371A
	v_max3_f32 v189, v28, v29, v189                            // 0000000041A0: D1D300BD 06F63B1C
	v_max3_f32 v189, v30, v31, v189                            // 0000000041A8: D1D300BD 06F63F1E
	v_max3_f32 v189, v32, v33, v189                            // 0000000041B0: D1D300BD 06F64320
	v_max3_f32 v189, v34, v35, v189                            // 0000000041B8: D1D300BD 06F64722
	v_mov_b32_e32 v188, v4                                     // 0000000041C0: 7F780304
	v_max3_f32 v188, v4, v5, v188                              // 0000000041C4: D1D300BC 06F20B04
	v_max3_f32 v188, v6, v7, v188                              // 0000000041CC: D1D300BC 06F20F06
	v_max3_f32 v188, v8, v9, v188                              // 0000000041D4: D1D300BC 06F21308
	v_max3_f32 v188, v10, v11, v188                            // 0000000041DC: D1D300BC 06F2170A
	v_max3_f32 v188, v12, v13, v188                            // 0000000041E4: D1D300BC 06F21B0C
	v_max3_f32 v188, v14, v15, v188                            // 0000000041EC: D1D300BC 06F21F0E
	v_max3_f32 v188, v16, v17, v188                            // 0000000041F4: D1D300BC 06F22310
	v_max3_f32 v188, v18, v19, v188                            // 0000000041FC: D1D300BC 06F22712
	v_max_f32_dpp v190, v190, v190 row_ror:8 row_mask:0xf bank_mask:0xf// 000000004204: 177D7CFA FF0128BE
	ds_bpermute_b32 v172, v212, v188                           // 00000000420C: D87E0000 AC00BCD4
	ds_bpermute_b32 v173, v213, v188                           // 000000004214: D87E0000 AD00BCD5
	ds_bpermute_b32 v174, v214, v188                           // 00000000421C: D87E0000 AE00BCD6
	ds_bpermute_b32 v175, v212, v189                           // 000000004224: D87E0000 AF00BDD4
	ds_bpermute_b32 v176, v213, v189                           // 00000000422C: D87E0000 B000BDD5
	ds_bpermute_b32 v177, v214, v189                           // 000000004234: D87E0000 B100BDD6
	ds_bpermute_b32 v178, v212, v190                           // 00000000423C: D87E0000 B200BED4
	ds_bpermute_b32 v179, v213, v190                           // 000000004244: D87E0000 B300BED5
	ds_bpermute_b32 v180, v214, v190                           // 00000000424C: D87E0000 B400BED6
	v_pk_mul_f32 v[124:125], v[200:201], v[124:125]            // 000000004254: D3B1407C 1802F9C8
	v_pk_mul_f32 v[126:127], v[200:201], v[126:127]            // 00000000425C: D3B1407E 1802FDC8
	v_pk_mul_f32 v[128:129], v[200:201], v[128:129]            // 000000004264: D3B14080 180301C8
	v_pk_mul_f32 v[130:131], v[200:201], v[130:131]            // 00000000426C: D3B14082 180305C8
	v_pk_mul_f32 v[132:133], v[202:203], v[132:133]            // 000000004274: D3B14084 180309CA
	v_pk_mul_f32 v[134:135], v[202:203], v[134:135]            // 00000000427C: D3B14086 18030DCA
	v_pk_mul_f32 v[136:137], v[202:203], v[136:137]            // 000000004284: D3B14088 180311CA
	v_pk_mul_f32 v[138:139], v[202:203], v[138:139]            // 00000000428C: D3B1408A 180315CA
	v_pk_mul_f32 v[140:141], v[204:205], v[140:141]            // 000000004294: D3B1408C 180319CC
	v_pk_mul_f32 v[142:143], v[204:205], v[142:143]            // 00000000429C: D3B1408E 18031DCC
	v_pk_mul_f32 v[144:145], v[204:205], v[144:145]            // 0000000042A4: D3B14090 180321CC
	v_pk_mul_f32 v[146:147], v[204:205], v[146:147]            // 0000000042AC: D3B14092 180325CC
	s_waitcnt lgkmcnt(6)                                       // 0000000042B4: BF8CC67F
	v_max3_f32 v188, v172, v173, v188                          // 0000000042B8: D1D300BC 06F35BAC
	v_max_f32_e32 v188, v174, v188                             // 0000000042C0: 177979AE
	s_waitcnt lgkmcnt(3)                                       // 0000000042C4: BF8CC37F
	v_max3_f32 v189, v175, v176, v189                          // 0000000042C8: D1D300BD 06F761AF
	v_max_f32_e32 v189, v177, v189                             // 0000000042D0: 177B7BB1
	s_waitcnt lgkmcnt(0)                                       // 0000000042D4: BF8CC07F
	v_max3_f32 v190, v178, v179, v190                          // 0000000042D8: D1D300BE 06FB67B2
	v_max_f32_e32 v190, v180, v190                             // 0000000042E0: 177D7DB4
	ds_write_b128 v246, v[188:191]                             // 0000000042E4: D9BE0000 0000BCF6
	s_waitcnt lgkmcnt(0)                                       // 0000000042EC: BF8CC07F
	s_barrier                                                  // 0000000042F0: BF8A0000
	ds_read_b128 v[172:175], v247                              // 0000000042F4: D9FE0000 AC0000F7
	ds_read_b128 v[176:179], v247 offset:256                   // 0000000042FC: D9FE0100 B00000F7
	ds_read_b128 v[180:183], v247 offset:512                   // 000000004304: D9FE0200 B40000F7
	ds_read_b128 v[184:187], v247 offset:768                   // 00000000430C: D9FE0300 B80000F7
	v_pk_mul_f32 v[100:101], v[158:159], v[100:101]            // 000000004314: D3B14064 1802C99E
	v_pk_mul_f32 v[102:103], v[158:159], v[102:103]            // 00000000431C: D3B14066 1802CD9E
	v_pk_mul_f32 v[104:105], v[158:159], v[104:105]            // 000000004324: D3B14068 1802D19E
	v_pk_mul_f32 v[106:107], v[158:159], v[106:107]            // 00000000432C: D3B1406A 1802D59E
	v_pk_mul_f32 v[108:109], v[160:161], v[108:109]            // 000000004334: D3B1406C 1802D9A0
	v_pk_mul_f32 v[110:111], v[160:161], v[110:111]            // 00000000433C: D3B1406E 1802DDA0
	v_pk_mul_f32 v[112:113], v[160:161], v[112:113]            // 000000004344: D3B14070 1802E1A0
	v_pk_mul_f32 v[114:115], v[160:161], v[114:115]            // 00000000434C: D3B14072 1802E5A0
	v_pk_mul_f32 v[116:117], v[162:163], v[116:117]            // 000000004354: D3B14074 1802E9A2
	v_pk_mul_f32 v[118:119], v[162:163], v[118:119]            // 00000000435C: D3B14076 1802EDA2
	v_pk_mul_f32 v[120:121], v[162:163], v[120:121]            // 000000004364: D3B14078 1802F1A2
	v_pk_mul_f32 v[122:123], v[162:163], v[122:123]            // 00000000436C: D3B1407A 1802F5A2
	s_waitcnt lgkmcnt(0)                                       // 000000004374: BF8CC07F
	v_max3_f32 v188, v172, v176, v188                          // 000000004378: D1D300BC 06F361AC
	v_max3_f32 v189, v173, v177, v189                          // 000000004380: D1D300BD 06F763AD
	v_max3_f32 v190, v174, v178, v190                          // 000000004388: D1D300BE 06FB65AE
	v_max3_f32 v188, v180, v184, v188                          // 000000004390: D1D300BC 06F371B4
	v_max3_f32 v189, v181, v185, v189                          // 000000004398: D1D300BD 06F773B5
	v_max3_f32 v190, v182, v186, v190                          // 0000000043A0: D1D300BE 06FB75B6
	v_max_f32_e32 v197, v188, v194                             // 0000000043A8: 178B85BC
	v_mul_f32_e64 v168, -s51, v197                             // 0000000043AC: D10500A8 20038A33
	v_mov_b32_e32 v169, v168                                   // 0000000043B4: 7F5203A8
	v_pk_fma_f32 v[4:5], v[4:5], s[86:87], v[168:169]          // 0000000043B8: D3B04004 1EA0AD04
	v_pk_fma_f32 v[6:7], v[6:7], s[86:87], v[168:169]          // 0000000043C0: D3B04006 1EA0AD06
	v_exp_f32_e32 v4, v4                                       // 0000000043C8: 7E084104
	v_exp_f32_e32 v5, v5                                       // 0000000043CC: 7E0A4105
	v_exp_f32_e32 v6, v6                                       // 0000000043D0: 7E0C4106
	v_exp_f32_e32 v7, v7                                       // 0000000043D4: 7E0E4107
	v_pk_fma_f32 v[8:9], v[8:9], s[86:87], v[168:169]          // 0000000043D8: D3B04008 1EA0AD08
	v_pk_fma_f32 v[10:11], v[10:11], s[86:87], v[168:169]      // 0000000043E0: D3B0400A 1EA0AD0A
	v_exp_f32_e32 v8, v8                                       // 0000000043E8: 7E104108
	v_exp_f32_e32 v9, v9                                       // 0000000043EC: 7E124109
	v_exp_f32_e32 v10, v10                                     // 0000000043F0: 7E14410A
	v_exp_f32_e32 v11, v11                                     // 0000000043F4: 7E16410B
	v_pk_fma_f32 v[12:13], v[12:13], s[86:87], v[168:169]      // 0000000043F8: D3B0400C 1EA0AD0C
	v_pk_fma_f32 v[14:15], v[14:15], s[86:87], v[168:169]      // 000000004400: D3B0400E 1EA0AD0E
	v_exp_f32_e32 v12, v12                                     // 000000004408: 7E18410C
	v_exp_f32_e32 v13, v13                                     // 00000000440C: 7E1A410D
	v_exp_f32_e32 v14, v14                                     // 000000004410: 7E1C410E
	v_exp_f32_e32 v15, v15                                     // 000000004414: 7E1E410F
	v_pk_fma_f32 v[16:17], v[16:17], s[86:87], v[168:169]      // 000000004418: D3B04010 1EA0AD10
	v_pk_fma_f32 v[18:19], v[18:19], s[86:87], v[168:169]      // 000000004420: D3B04012 1EA0AD12
	v_exp_f32_e32 v16, v16                                     // 000000004428: 7E204110
	v_exp_f32_e32 v17, v17                                     // 00000000442C: 7E224111
	v_exp_f32_e32 v18, v18                                     // 000000004430: 7E244112
	v_exp_f32_e32 v19, v19                                     // 000000004434: 7E264113
	v_max_f32_e32 v198, v189, v195                             // 000000004438: 178D87BD
	v_mul_f32_e64 v168, -s51, v198                             // 00000000443C: D10500A8 20038C33
	v_mov_b32_e32 v169, v168                                   // 000000004444: 7F5203A8
	v_pk_fma_f32 v[20:21], v[20:21], s[86:87], v[168:169]      // 000000004448: D3B04014 1EA0AD14
	v_pk_fma_f32 v[22:23], v[22:23], s[86:87], v[168:169]      // 000000004450: D3B04016 1EA0AD16
	v_exp_f32_e32 v20, v20                                     // 000000004458: 7E284114
	v_exp_f32_e32 v21, v21                                     // 00000000445C: 7E2A4115
	v_exp_f32_e32 v22, v22                                     // 000000004460: 7E2C4116
	v_exp_f32_e32 v23, v23                                     // 000000004464: 7E2E4117
	v_pk_fma_f32 v[24:25], v[24:25], s[86:87], v[168:169]      // 000000004468: D3B04018 1EA0AD18
	v_pk_fma_f32 v[26:27], v[26:27], s[86:87], v[168:169]      // 000000004470: D3B0401A 1EA0AD1A
	v_exp_f32_e32 v24, v24                                     // 000000004478: 7E304118
	v_exp_f32_e32 v25, v25                                     // 00000000447C: 7E324119
	v_exp_f32_e32 v26, v26                                     // 000000004480: 7E34411A
	v_exp_f32_e32 v27, v27                                     // 000000004484: 7E36411B
	v_pk_fma_f32 v[28:29], v[28:29], s[86:87], v[168:169]      // 000000004488: D3B0401C 1EA0AD1C
	v_pk_fma_f32 v[30:31], v[30:31], s[86:87], v[168:169]      // 000000004490: D3B0401E 1EA0AD1E
	v_exp_f32_e32 v28, v28                                     // 000000004498: 7E38411C
	v_exp_f32_e32 v29, v29                                     // 00000000449C: 7E3A411D
	v_exp_f32_e32 v30, v30                                     // 0000000044A0: 7E3C411E
	v_exp_f32_e32 v31, v31                                     // 0000000044A4: 7E3E411F
	v_pk_fma_f32 v[32:33], v[32:33], s[86:87], v[168:169]      // 0000000044A8: D3B04020 1EA0AD20
	v_pk_fma_f32 v[34:35], v[34:35], s[86:87], v[168:169]      // 0000000044B0: D3B04022 1EA0AD22
	v_exp_f32_e32 v32, v32                                     // 0000000044B8: 7E404120
	v_exp_f32_e32 v33, v33                                     // 0000000044BC: 7E424121
	v_exp_f32_e32 v34, v34                                     // 0000000044C0: 7E444122
	v_exp_f32_e32 v35, v35                                     // 0000000044C4: 7E464123
	v_max_f32_e32 v199, v190, v196                             // 0000000044C8: 178F89BE
	v_mul_f32_e64 v168, -s51, v199                             // 0000000044CC: D10500A8 20038E33
	v_mov_b32_e32 v169, v168                                   // 0000000044D4: 7F5203A8
	v_pk_fma_f32 v[36:37], v[36:37], s[86:87], v[168:169]      // 0000000044D8: D3B04024 1EA0AD24
	v_pk_fma_f32 v[38:39], v[38:39], s[86:87], v[168:169]      // 0000000044E0: D3B04026 1EA0AD26
	v_exp_f32_e32 v36, v36                                     // 0000000044E8: 7E484124
	v_exp_f32_e32 v37, v37                                     // 0000000044EC: 7E4A4125
	v_exp_f32_e32 v38, v38                                     // 0000000044F0: 7E4C4126
	v_exp_f32_e32 v39, v39                                     // 0000000044F4: 7E4E4127
	v_pk_fma_f32 v[40:41], v[40:41], s[86:87], v[168:169]      // 0000000044F8: D3B04028 1EA0AD28
	v_pk_fma_f32 v[42:43], v[42:43], s[86:87], v[168:169]      // 000000004500: D3B0402A 1EA0AD2A
	v_exp_f32_e32 v40, v40                                     // 000000004508: 7E504128
	v_exp_f32_e32 v41, v41                                     // 00000000450C: 7E524129
	v_exp_f32_e32 v42, v42                                     // 000000004510: 7E54412A
	v_exp_f32_e32 v43, v43                                     // 000000004514: 7E56412B
	v_mul_f32_dpp v52, v157, v4 row_newbcast:0 row_mask:0xf bank_mask:0xf// 000000004518: 0A6808FA FF01509D
	v_mul_f32_dpp v53, v157, v5 row_newbcast:1 row_mask:0xf bank_mask:0xf// 000000004520: 0A6A0AFA FF01519D
	v_mul_f32_dpp v54, v157, v6 row_newbcast:2 row_mask:0xf bank_mask:0xf// 000000004528: 0A6C0CFA FF01529D
	v_mul_f32_dpp v55, v157, v7 row_newbcast:3 row_mask:0xf bank_mask:0xf// 000000004530: 0A6E0EFA FF01539D
	v_mul_f32_dpp v56, v157, v8 row_newbcast:4 row_mask:0xf bank_mask:0xf// 000000004538: 0A7010FA FF01549D
	v_mul_f32_dpp v57, v157, v9 row_newbcast:5 row_mask:0xf bank_mask:0xf// 000000004540: 0A7212FA FF01559D
	v_mul_f32_dpp v58, v157, v10 row_newbcast:6 row_mask:0xf bank_mask:0xf// 000000004548: 0A7414FA FF01569D
	v_mul_f32_dpp v59, v157, v11 row_newbcast:7 row_mask:0xf bank_mask:0xf// 000000004550: 0A7616FA FF01579D
	v_mul_f32_dpp v60, v157, v12 row_newbcast:8 row_mask:0xf bank_mask:0xf// 000000004558: 0A7818FA FF01589D
	v_mul_f32_dpp v61, v157, v13 row_newbcast:9 row_mask:0xf bank_mask:0xf// 000000004560: 0A7A1AFA FF01599D
	v_mul_f32_dpp v62, v157, v14 row_newbcast:10 row_mask:0xf bank_mask:0xf// 000000004568: 0A7C1CFA FF015A9D
	v_mul_f32_dpp v63, v157, v15 row_newbcast:11 row_mask:0xf bank_mask:0xf// 000000004570: 0A7E1EFA FF015B9D
	v_mul_f32_dpp v64, v157, v16 row_newbcast:12 row_mask:0xf bank_mask:0xf// 000000004578: 0A8020FA FF015C9D
	v_mul_f32_dpp v65, v157, v17 row_newbcast:13 row_mask:0xf bank_mask:0xf// 000000004580: 0A8222FA FF015D9D
	v_mul_f32_dpp v66, v157, v18 row_newbcast:14 row_mask:0xf bank_mask:0xf// 000000004588: 0A8424FA FF015E9D
	v_mul_f32_dpp v67, v157, v19 row_newbcast:15 row_mask:0xf bank_mask:0xf// 000000004590: 0A8626FA FF015F9D
	v_mul_f32_dpp v68, v157, v20 row_newbcast:0 row_mask:0xf bank_mask:0xf// 000000004598: 0A8828FA FF01509D
	v_mul_f32_dpp v69, v157, v21 row_newbcast:1 row_mask:0xf bank_mask:0xf// 0000000045A0: 0A8A2AFA FF01519D
	v_mul_f32_dpp v70, v157, v22 row_newbcast:2 row_mask:0xf bank_mask:0xf// 0000000045A8: 0A8C2CFA FF01529D
	v_mul_f32_dpp v71, v157, v23 row_newbcast:3 row_mask:0xf bank_mask:0xf// 0000000045B0: 0A8E2EFA FF01539D
	v_mul_f32_dpp v72, v157, v24 row_newbcast:4 row_mask:0xf bank_mask:0xf// 0000000045B8: 0A9030FA FF01549D
	v_mul_f32_dpp v73, v157, v25 row_newbcast:5 row_mask:0xf bank_mask:0xf// 0000000045C0: 0A9232FA FF01559D
	v_mul_f32_dpp v74, v157, v26 row_newbcast:6 row_mask:0xf bank_mask:0xf// 0000000045C8: 0A9434FA FF01569D
	v_mul_f32_dpp v75, v157, v27 row_newbcast:7 row_mask:0xf bank_mask:0xf// 0000000045D0: 0A9636FA FF01579D
	v_mul_f32_dpp v76, v157, v28 row_newbcast:8 row_mask:0xf bank_mask:0xf// 0000000045D8: 0A9838FA FF01589D
	v_mul_f32_dpp v77, v157, v29 row_newbcast:9 row_mask:0xf bank_mask:0xf// 0000000045E0: 0A9A3AFA FF01599D
	v_mul_f32_dpp v78, v157, v30 row_newbcast:10 row_mask:0xf bank_mask:0xf// 0000000045E8: 0A9C3CFA FF015A9D
	v_mul_f32_dpp v79, v157, v31 row_newbcast:11 row_mask:0xf bank_mask:0xf// 0000000045F0: 0A9E3EFA FF015B9D
	v_mul_f32_dpp v80, v157, v32 row_newbcast:12 row_mask:0xf bank_mask:0xf// 0000000045F8: 0AA040FA FF015C9D
	v_mul_f32_dpp v81, v157, v33 row_newbcast:13 row_mask:0xf bank_mask:0xf// 000000004600: 0AA242FA FF015D9D
	v_mul_f32_dpp v82, v157, v34 row_newbcast:14 row_mask:0xf bank_mask:0xf// 000000004608: 0AA444FA FF015E9D
	v_mul_f32_dpp v83, v157, v35 row_newbcast:15 row_mask:0xf bank_mask:0xf// 000000004610: 0AA646FA FF015F9D
	v_mul_f32_dpp v84, v166, v36 quad_perm:[0,0,0,0] row_mask:0xf bank_mask:0xf// 000000004618: 0AA848FA FF0000A6
	v_mul_f32_dpp v85, v166, v37 quad_perm:[1,1,1,1] row_mask:0xf bank_mask:0xf// 000000004620: 0AAA4AFA FF0055A6
	v_mul_f32_dpp v86, v166, v38 quad_perm:[2,2,2,2] row_mask:0xf bank_mask:0xf// 000000004628: 0AAC4CFA FF00AAA6
	v_mul_f32_dpp v87, v166, v39 quad_perm:[3,3,3,3] row_mask:0xf bank_mask:0xf// 000000004630: 0AAE4EFA FF00FFA6
	v_mul_f32_dpp v88, v167, v40 quad_perm:[0,0,0,0] row_mask:0xf bank_mask:0xf// 000000004638: 0AB050FA FF0000A7
	v_mul_f32_dpp v89, v167, v41 quad_perm:[1,1,1,1] row_mask:0xf bank_mask:0xf// 000000004640: 0AB252FA FF0055A7
	v_mul_f32_dpp v90, v167, v42 quad_perm:[2,2,2,2] row_mask:0xf bank_mask:0xf// 000000004648: 0AB454FA FF00AAA7
	v_mul_f32_dpp v91, v167, v43 quad_perm:[3,3,3,3] row_mask:0xf bank_mask:0xf// 000000004650: 0AB656FA FF00FFA7
	v_mov_b32_e32 v190, 0x358637bd                             // 000000004658: 7F7C02FF 358637BD
	v_max3_f32 v190, |v84|, |v85|, v190                        // 000000004660: D1D303BE 06FAAB54
	v_max3_f32 v190, |v86|, |v87|, v190                        // 000000004668: D1D303BE 06FAAF56
	v_max3_f32 v190, |v88|, |v89|, v190                        // 000000004670: D1D303BE 06FAB358
	v_max3_f32 v190, |v90|, |v91|, v190                        // 000000004678: D1D303BE 06FAB75A
	v_mov_b32_e32 v189, 0x358637bd                             // 000000004680: 7F7A02FF 358637BD
	v_max3_f32 v189, |v68|, |v69|, v189                        // 000000004688: D1D303BD 06F68B44
	v_max3_f32 v189, |v70|, |v71|, v189                        // 000000004690: D1D303BD 06F68F46
	v_max3_f32 v189, |v72|, |v73|, v189                        // 000000004698: D1D303BD 06F69348
	v_max3_f32 v189, |v74|, |v75|, v189                        // 0000000046A0: D1D303BD 06F6974A
	v_max3_f32 v189, |v76|, |v77|, v189                        // 0000000046A8: D1D303BD 06F69B4C
	v_max3_f32 v189, |v78|, |v79|, v189                        // 0000000046B0: D1D303BD 06F69F4E
	v_max3_f32 v189, |v80|, |v81|, v189                        // 0000000046B8: D1D303BD 06F6A350
	v_max3_f32 v189, |v82|, |v83|, v189                        // 0000000046C0: D1D303BD 06F6A752
	v_mov_b32_e32 v188, 0x358637bd                             // 0000000046C8: 7F7802FF 358637BD
	v_max3_f32 v188, |v52|, |v53|, v188                        // 0000000046D0: D1D303BC 06F26B34
	v_max3_f32 v188, |v54|, |v55|, v188                        // 0000000046D8: D1D303BC 06F26F36
	v_max3_f32 v188, |v56|, |v57|, v188                        // 0000000046E0: D1D303BC 06F27338
	v_max3_f32 v188, |v58|, |v59|, v188                        // 0000000046E8: D1D303BC 06F2773A
	v_max3_f32 v188, |v60|, |v61|, v188                        // 0000000046F0: D1D303BC 06F27B3C
	v_max3_f32 v188, |v62|, |v63|, v188                        // 0000000046F8: D1D303BC 06F27F3E
	v_max3_f32 v188, |v64|, |v65|, v188                        // 000000004700: D1D303BC 06F28340
	v_max3_f32 v188, |v66|, |v67|, v188                        // 000000004708: D1D303BC 06F28742
	v_max_f32_dpp v190, v190, v190 row_ror:8 row_mask:0xf bank_mask:0xf// 000000004710: 177D7CFA FF0128BE
	ds_bpermute_b32 v172, v212, v188                           // 000000004718: D87E0000 AC00BCD4
	ds_bpermute_b32 v173, v213, v188                           // 000000004720: D87E0000 AD00BCD5
	ds_bpermute_b32 v174, v214, v188                           // 000000004728: D87E0000 AE00BCD6
	ds_bpermute_b32 v175, v212, v189                           // 000000004730: D87E0000 AF00BDD4
	ds_bpermute_b32 v176, v213, v189                           // 000000004738: D87E0000 B000BDD5
	ds_bpermute_b32 v177, v214, v189                           // 000000004740: D87E0000 B100BDD6
	ds_bpermute_b32 v178, v212, v190                           // 000000004748: D87E0000 B200BED4
	ds_bpermute_b32 v179, v213, v190                           // 000000004750: D87E0000 B300BED5
	ds_bpermute_b32 v180, v214, v190                           // 000000004758: D87E0000 B400BED6
	s_waitcnt lgkmcnt(6)                                       // 000000004760: BF8CC67F
	v_max3_f32 v188, v172, v173, v188                          // 000000004764: D1D300BC 06F35BAC
	v_max_f32_e32 v188, v174, v188                             // 00000000476C: 177979AE
	s_waitcnt lgkmcnt(3)                                       // 000000004770: BF8CC37F
	v_max3_f32 v189, v175, v176, v189                          // 000000004774: D1D300BD 06F761AF
	v_max_f32_e32 v189, v177, v189                             // 00000000477C: 177B7BB1
	s_waitcnt lgkmcnt(0)                                       // 000000004780: BF8CC07F
	v_max3_f32 v190, v178, v179, v190                          // 000000004784: D1D300BE 06FB67B2
	v_max_f32_e32 v190, v180, v190                             // 00000000478C: 177D7DB4
	ds_write_b128 v246, v[188:191] offset:4096                 // 000000004790: D9BE1000 0000BCF6
	buffer_load_dword v154, v238, s[28:31], 0 offen            // 000000004798: E0501000 80079AEE
	v_sub_f32_e32 v200, v194, v197                             // 0000000047A0: 05918BC2
	v_cmp_eq_u32_e64 s[84:85], v225, v194                      // 0000000047A4: D0CA0054 000385E1
	v_cndmask_b32_e64 v200, v200, 0, s[84:85]                  // 0000000047AC: D10000C8 015101C8
	v_mov_b32_e32 v194, v197                                   // 0000000047B4: 7F8403C5
	v_mul_f32_e32 v200, s51, v200                              // 0000000047B8: 0B919033
	v_exp_f32_e32 v200, v200                                   // 0000000047BC: 7F9041C8
	v_sub_f32_e32 v202, v195, v198                             // 0000000047C0: 05958DC3
	v_cmp_eq_u32_e64 s[84:85], v225, v195                      // 0000000047C4: D0CA0054 000387E1
	v_cndmask_b32_e64 v202, v202, 0, s[84:85]                  // 0000000047CC: D10000CA 015101CA
	v_mov_b32_e32 v195, v198                                   // 0000000047D4: 7F8603C6
	v_mul_f32_e32 v202, s51, v202                              // 0000000047D8: 0B959433
	v_exp_f32_e32 v202, v202                                   // 0000000047DC: 7F9441CA
	v_sub_f32_e32 v204, v196, v199                             // 0000000047E0: 05998FC4
	v_cmp_eq_u32_e64 s[84:85], v225, v196                      // 0000000047E4: D0CA0054 000389E1
	v_cndmask_b32_e64 v204, v204, 0, s[84:85]                  // 0000000047EC: D10000CC 015101CC
	v_mov_b32_e32 v196, v199                                   // 0000000047F4: 7F8803C7
	v_mul_f32_e32 v204, s51, v204                              // 0000000047F8: 0B999833
	v_exp_f32_e32 v204, v204                                   // 0000000047FC: 7F9841CC
	v_mov_b32_e32 v201, v200                                   // 000000004800: 7F9203C8
	v_mov_b32_e32 v203, v202                                   // 000000004804: 7F9603CA
	v_mov_b32_e32 v205, v204                                   // 000000004808: 7F9A03CC
	s_waitcnt lgkmcnt(0)                                       // 00000000480C: BF8CC07F
	s_barrier                                                  // 000000004810: BF8A0000
	ds_read_b128 v[172:175], v247 offset:4096                  // 000000004814: D9FE1000 AC0000F7
	ds_read_b128 v[176:179], v247 offset:4352                  // 00000000481C: D9FE1100 B00000F7
	ds_read_b128 v[180:183], v247 offset:4608                  // 000000004824: D9FE1200 B40000F7
	ds_read_b128 v[184:187], v247 offset:4864                  // 00000000482C: D9FE1300 B80000F7
	buffer_load_dword v156, v239, s[32:35], 0 offen            // 000000004834: E0501000 80089CEF
	v_mul_f32_e32 v206, v200, v206                             // 00000000483C: 0B9D9DC8
	v_mov_b32_e32 v207, 0                                      // 000000004840: 7F9E0280
	v_pk_add_f32 v[206:207], v[4:5], v[206:207]                // 000000004844: D3B240CE 18039D04
	v_pk_add_f32 v[206:207], v[6:7], v[206:207]                // 00000000484C: D3B240CE 18039D06
	v_pk_add_f32 v[206:207], v[8:9], v[206:207]                // 000000004854: D3B240CE 18039D08
	v_pk_add_f32 v[206:207], v[10:11], v[206:207]              // 00000000485C: D3B240CE 18039D0A
	v_pk_add_f32 v[206:207], v[12:13], v[206:207]              // 000000004864: D3B240CE 18039D0C
	v_pk_add_f32 v[206:207], v[14:15], v[206:207]              // 00000000486C: D3B240CE 18039D0E
	v_pk_add_f32 v[206:207], v[16:17], v[206:207]              // 000000004874: D3B240CE 18039D10
	v_pk_add_f32 v[206:207], v[18:19], v[206:207]              // 00000000487C: D3B240CE 18039D12
	v_add_f32_e32 v206, v207, v206                             // 000000004884: 039D9DCF
	v_mul_f32_e32 v208, v202, v208                             // 000000004888: 0BA1A1CA
	v_mov_b32_e32 v209, 0                                      // 00000000488C: 7FA20280
	v_pk_add_f32 v[208:209], v[20:21], v[208:209]              // 000000004890: D3B240D0 1803A114
	v_pk_add_f32 v[208:209], v[22:23], v[208:209]              // 000000004898: D3B240D0 1803A116
	v_pk_add_f32 v[208:209], v[24:25], v[208:209]              // 0000000048A0: D3B240D0 1803A118
	v_pk_add_f32 v[208:209], v[26:27], v[208:209]              // 0000000048A8: D3B240D0 1803A11A
	v_pk_add_f32 v[208:209], v[28:29], v[208:209]              // 0000000048B0: D3B240D0 1803A11C
	v_pk_add_f32 v[208:209], v[30:31], v[208:209]              // 0000000048B8: D3B240D0 1803A11E
	v_pk_add_f32 v[208:209], v[32:33], v[208:209]              // 0000000048C0: D3B240D0 1803A120
	v_pk_add_f32 v[208:209], v[34:35], v[208:209]              // 0000000048C8: D3B240D0 1803A122
	v_add_f32_e32 v208, v209, v208                             // 0000000048D0: 03A1A1D1
	v_mul_f32_e32 v210, v204, v210                             // 0000000048D4: 0BA5A5CC
	v_mov_b32_e32 v211, 0                                      // 0000000048D8: 7FA60280
	v_pk_add_f32 v[210:211], v[36:37], v[210:211]              // 0000000048DC: D3B240D2 1803A524
	v_pk_add_f32 v[210:211], v[38:39], v[210:211]              // 0000000048E4: D3B240D2 1803A526
	v_pk_add_f32 v[210:211], v[40:41], v[210:211]              // 0000000048EC: D3B240D2 1803A528
	v_pk_add_f32 v[210:211], v[42:43], v[210:211]              // 0000000048F4: D3B240D2 1803A52A
	v_add_f32_e32 v210, v211, v210                             // 0000000048FC: 03A5A5D3
	s_waitcnt lgkmcnt(0)                                       // 000000004900: BF8CC07F
	v_max3_f32 v188, v172, v176, v188                          // 000000004904: D1D300BC 06F361AC
	v_max3_f32 v189, v173, v177, v189                          // 00000000490C: D1D300BD 06F763AD
	v_max3_f32 v190, v174, v178, v190                          // 000000004914: D1D300BE 06FB65AE
	v_max3_f32 v188, v180, v184, v188                          // 00000000491C: D1D300BC 06F371B4
	v_max3_f32 v189, v181, v185, v189                          // 000000004924: D1D300BD 06F773B5
	v_max3_f32 v190, v182, v186, v190                          // 00000000492C: D1D300BE 06FB75B6
	v_rcp_f32_e32 v188, v188                                   // 000000004934: 7F7845BC
	v_rcp_f32_e32 v189, v189                                   // 000000004938: 7F7A45BD
	v_rcp_f32_e32 v190, v190                                   // 00000000493C: 7F7C45BE
	v_mul_f32_e32 v188, 0x43700000, v188                       // 000000004940: 0B7978FF 43700000
	v_mul_f32_e32 v189, 0x43700000, v189                       // 000000004948: 0B7B7AFF 43700000
	v_mul_f32_e32 v190, 0x43700000, v190                       // 000000004950: 0B7D7CFF 43700000
	v_mov_b32_e32 v192, v190                                   // 000000004958: 7F8003BE
	v_mov_b32_e32 v193, v190                                   // 00000000495C: 7F8203BE
	v_mov_b32_e32 v190, v189                                   // 000000004960: 7F7C03BD
	v_mov_b32_e32 v191, v189                                   // 000000004964: 7F7E03BD
	v_mov_b32_e32 v189, v188                                   // 000000004968: 7F7A03BC
	v_pk_mul_f32 v[4:5], v[188:189], v[52:53]                  // 00000000496C: D3B14004 180269BC
	v_pk_mul_f32 v[6:7], v[188:189], v[54:55]                  // 000000004974: D3B14006 18026DBC
	v_pk_mul_f32 v[8:9], v[188:189], v[56:57]                  // 00000000497C: D3B14008 180271BC
	v_pk_mul_f32 v[10:11], v[188:189], v[58:59]                // 000000004984: D3B1400A 180275BC
	v_pk_mul_f32 v[12:13], v[188:189], v[60:61]                // 00000000498C: D3B1400C 180279BC
	v_pk_mul_f32 v[14:15], v[188:189], v[62:63]                // 000000004994: D3B1400E 18027DBC
	v_pk_mul_f32 v[16:17], v[188:189], v[64:65]                // 00000000499C: D3B14010 180281BC
	v_pk_mul_f32 v[18:19], v[188:189], v[66:67]                // 0000000049A4: D3B14012 180285BC
	v_pk_mul_f32 v[20:21], v[190:191], v[68:69]                // 0000000049AC: D3B14014 180289BE
	v_pk_mul_f32 v[22:23], v[190:191], v[70:71]                // 0000000049B4: D3B14016 18028DBE
	v_pk_mul_f32 v[24:25], v[190:191], v[72:73]                // 0000000049BC: D3B14018 180291BE
	v_pk_mul_f32 v[26:27], v[190:191], v[74:75]                // 0000000049C4: D3B1401A 180295BE
	v_pk_mul_f32 v[28:29], v[190:191], v[76:77]                // 0000000049CC: D3B1401C 180299BE
	v_pk_mul_f32 v[30:31], v[190:191], v[78:79]                // 0000000049D4: D3B1401E 18029DBE
	v_pk_mul_f32 v[32:33], v[190:191], v[80:81]                // 0000000049DC: D3B14020 1802A1BE
	v_pk_mul_f32 v[34:35], v[190:191], v[82:83]                // 0000000049E4: D3B14022 1802A5BE
	v_pk_mul_f32 v[36:37], v[192:193], v[84:85]                // 0000000049EC: D3B14024 1802A9C0
	v_pk_mul_f32 v[38:39], v[192:193], v[86:87]                // 0000000049F4: D3B14026 1802ADC0
	v_pk_mul_f32 v[40:41], v[192:193], v[88:89]                // 0000000049FC: D3B14028 1802B1C0
	v_pk_mul_f32 v[42:43], v[192:193], v[90:91]                // 000000004A04: D3B1402A 1802B5C0
	v_cvt_pk_fp8_f32 v4, v4, v5                                // 000000004A0C: D2A20004 00020B04
	v_cvt_pk_fp8_f32 v4, v6, v7 op_sel:[0,0,1]                 // 000000004A14: D2A24004 00020F06
	v_cvt_pk_fp8_f32 v5, v8, v9                                // 000000004A1C: D2A20005 00021308
	v_cvt_pk_fp8_f32 v5, v10, v11 op_sel:[0,0,1]               // 000000004A24: D2A24005 0002170A
	v_cvt_pk_fp8_f32 v6, v12, v13                              // 000000004A2C: D2A20006 00021B0C
	v_cvt_pk_fp8_f32 v6, v14, v15 op_sel:[0,0,1]               // 000000004A34: D2A24006 00021F0E
	v_cvt_pk_fp8_f32 v7, v16, v17                              // 000000004A3C: D2A20007 00022310
	v_cvt_pk_fp8_f32 v7, v18, v19 op_sel:[0,0,1]               // 000000004A44: D2A24007 00022712
	v_cvt_pk_fp8_f32 v8, v20, v21                              // 000000004A4C: D2A20008 00022B14
	v_cvt_pk_fp8_f32 v8, v22, v23 op_sel:[0,0,1]               // 000000004A54: D2A24008 00022F16
	v_cvt_pk_fp8_f32 v9, v24, v25                              // 000000004A5C: D2A20009 00023318
	v_cvt_pk_fp8_f32 v9, v26, v27 op_sel:[0,0,1]               // 000000004A64: D2A24009 0002371A
	v_cvt_pk_fp8_f32 v10, v28, v29                             // 000000004A6C: D2A2000A 00023B1C
	v_cvt_pk_fp8_f32 v10, v30, v31 op_sel:[0,0,1]              // 000000004A74: D2A2400A 00023F1E
	v_cvt_pk_fp8_f32 v11, v32, v33                             // 000000004A7C: D2A2000B 00024320
	v_cvt_pk_fp8_f32 v11, v34, v35 op_sel:[0,0,1]              // 000000004A84: D2A2400B 00024722
	v_cvt_pk_fp8_f32 v12, v36, v37                             // 000000004A8C: D2A2000C 00024B24
	v_cvt_pk_fp8_f32 v12, v38, v39 op_sel:[0,0,1]              // 000000004A94: D2A2400C 00024F26
	v_cvt_pk_fp8_f32 v13, v40, v41                             // 000000004A9C: D2A2000D 00025328
	v_cvt_pk_fp8_f32 v13, v42, v43 op_sel:[0,0,1]              // 000000004AA4: D2A2400D 0002572A
	v_mov_b32_dpp v14, v12 row_shl:8 row_mask:0xf bank_mask:0xf bound_ctrl:1// 000000004AAC: 7E1C02FA FF09080C
	v_and_b32_e32 v12, v12, v224                               // 000000004AB4: 2619C10C
	v_mov_b32_dpp v15, v13 row_shl:8 row_mask:0xf bank_mask:0xf bound_ctrl:1// 000000004AB8: 7E1E02FA FF09080D
	v_and_b32_e32 v13, v13, v224                               // 000000004AC0: 261BC10D
	ds_write_b32 v248, v4 offset:8192                          // 000000004AC4: D81A2000 000004F8
	ds_write_b32 v248, v5 offset:9216                          // 000000004ACC: D81A2400 000005F8
	ds_write_b32 v248, v6 offset:10240                         // 000000004AD4: D81A2800 000006F8
	ds_write_b32 v248, v7 offset:11264                         // 000000004ADC: D81A2C00 000007F8
	ds_write_b32 v248, v8 offset:12288                         // 000000004AE4: D81A3000 000008F8
	ds_write_b32 v248, v9 offset:13312                         // 000000004AEC: D81A3400 000009F8
	ds_write_b32 v248, v10 offset:14336                        // 000000004AF4: D81A3800 00000AF8
	ds_write_b32 v248, v11 offset:15360                        // 000000004AFC: D81A3C00 00000BF8
	ds_write_b32 v248, v12 offset:16384                        // 000000004B04: D81A4000 00000CF8
	ds_write_b32 v248, v13 offset:17408                        // 000000004B0C: D81A4400 00000DF8
	ds_write_b32 v248, v14 offset:18432                        // 000000004B14: D81A4800 00000EF8
	ds_write_b32 v248, v15 offset:19456                        // 000000004B1C: D81A4C00 00000FF8
	v_rcp_f32_e32 v158, v188                                   // 000000004B24: 7F3C45BC
	v_rcp_f32_e32 v160, v190                                   // 000000004B28: 7F4045BE
	v_rcp_f32_e32 v162, v192                                   // 000000004B2C: 7F4445C0
	v_mov_b32_e32 v159, v158                                   // 000000004B30: 7F3E039E
	v_mov_b32_e32 v161, v160                                   // 000000004B34: 7F4203A0
	v_mov_b32_e32 v163, v162                                   // 000000004B38: 7F4603A2
	v_pk_add_f32 v[124:125], v[124:125], v[100:101]            // 000000004B3C: D3B2407C 1802C97C
	v_pk_add_f32 v[126:127], v[126:127], v[102:103]            // 000000004B44: D3B2407E 1802CD7E
	v_pk_add_f32 v[128:129], v[128:129], v[104:105]            // 000000004B4C: D3B24080 1802D180
	v_pk_add_f32 v[130:131], v[130:131], v[106:107]            // 000000004B54: D3B24082 1802D582
	v_pk_add_f32 v[132:133], v[132:133], v[108:109]            // 000000004B5C: D3B24084 1802D984
	v_pk_add_f32 v[134:135], v[134:135], v[110:111]            // 000000004B64: D3B24086 1802DD86
	v_pk_add_f32 v[136:137], v[136:137], v[112:113]            // 000000004B6C: D3B24088 1802E188
	v_pk_add_f32 v[138:139], v[138:139], v[114:115]            // 000000004B74: D3B2408A 1802E58A
	v_pk_add_f32 v[140:141], v[140:141], v[116:117]            // 000000004B7C: D3B2408C 1802E98C
	v_pk_add_f32 v[142:143], v[142:143], v[118:119]            // 000000004B84: D3B2408E 1802ED8E
	v_pk_add_f32 v[144:145], v[144:145], v[120:121]            // 000000004B8C: D3B24090 1802F190
	v_pk_add_f32 v[146:147], v[146:147], v[122:123]            // 000000004B94: D3B24092 1802F592
	s_waitcnt lgkmcnt(0)                                       // 000000004B9C: BF8CC07F
	s_barrier                                                  // 000000004BA0: BF8A0000
	ds_read_b128 v[4:7], v249 offset:8192                      // 000000004BA4: D9FE2000 040000F9
	ds_read_b128 v[8:11], v249 offset:9216                     // 000000004BAC: D9FE2400 080000F9
	ds_read_b128 v[12:15], v249 offset:10240                   // 000000004BB4: D9FE2800 0C0000F9
	ds_read_b128 v[16:19], v249 offset:11264                   // 000000004BBC: D9FE2C00 100000F9
	ds_read_b128 v[20:23], v249 offset:12288                   // 000000004BC4: D9FE3000 140000F9
	ds_read_b128 v[24:27], v249 offset:13312                   // 000000004BCC: D9FE3400 180000F9
	ds_read_b128 v[28:31], v249 offset:14336                   // 000000004BD4: D9FE3800 1C0000F9
	ds_read_b128 v[32:35], v249 offset:15360                   // 000000004BDC: D9FE3C00 200000F9
	ds_read_b128 v[36:39], v249 offset:16384                   // 000000004BE4: D9FE4000 240000F9
	ds_read_b128 v[40:43], v249 offset:17408                   // 000000004BEC: D9FE4400 280000F9
	ds_read_b128 v[44:47], v249 offset:18432                   // 000000004BF4: D9FE4800 2C0000F9
	ds_read_b128 v[48:51], v249 offset:19456                   // 000000004BFC: D9FE4C00 300000F9
	s_waitcnt vmcnt(10)                                        // 000000004C04: BF8C0F7A
	s_waitcnt lgkmcnt(11)                                      // 000000004C08: BF8CCB7F
	v_mfma_f32_16x16x32_fp8_fp8 v[100:103], a[120:121], v[4:5], 0// 000000004C0C: D3F30064 0A020978
	v_mfma_f32_16x16x32_fp8_fp8 v[104:107], a[136:137], v[4:5], 0// 000000004C14: D3F30068 0A020988
	v_mfma_f32_16x16x32_fp8_fp8 v[100:103], a[122:123], v[6:7], v[100:103]// 000000004C1C: D3F30064 0D920D7A
	buffer_load_dwordx4 a[88:91], v234, s[16:19], 0 offen      // 000000004C24: E05C1000 808458EA
	v_mfma_f32_16x16x32_fp8_fp8 v[104:107], a[138:139], v[6:7], v[104:107]// 000000004C2C: D3F30068 0DA20D8A
	s_waitcnt lgkmcnt(10)                                      // 000000004C34: BF8CCA7F
	v_mfma_f32_16x16x32_fp8_fp8 v[100:103], a[124:125], v[8:9], v[100:103]// 000000004C38: D3F30064 0D92117C
	v_mfma_f32_16x16x32_fp8_fp8 v[104:107], a[140:141], v[8:9], v[104:107]// 000000004C40: D3F30068 0DA2118C
	v_mfma_f32_16x16x32_fp8_fp8 v[100:103], a[126:127], v[10:11], v[100:103]// 000000004C48: D3F30064 0D92157E
	buffer_load_dwordx4 a[92:95], v235, s[16:19], 0 offen      // 000000004C50: E05C1000 80845CEB
	v_mfma_f32_16x16x32_fp8_fp8 v[104:107], a[142:143], v[10:11], v[104:107]// 000000004C58: D3F30068 0DA2158E
	s_waitcnt lgkmcnt(9)                                       // 000000004C60: BF8CC97F
	v_mfma_f32_16x16x32_fp8_fp8 v[100:103], a[128:129], v[12:13], v[100:103]// 000000004C64: D3F30064 0D921980
	v_mfma_f32_16x16x32_fp8_fp8 v[104:107], a[144:145], v[12:13], v[104:107]// 000000004C6C: D3F30068 0DA21990
	v_mfma_f32_16x16x32_fp8_fp8 v[100:103], a[130:131], v[14:15], v[100:103]// 000000004C74: D3F30064 0D921D82
	buffer_load_dwordx4 a[96:99], v236, s[16:19], 0 offen      // 000000004C7C: E05C1000 808460EC
	v_mfma_f32_16x16x32_fp8_fp8 v[104:107], a[146:147], v[14:15], v[104:107]// 000000004C84: D3F30068 0DA21D92
	s_waitcnt lgkmcnt(8)                                       // 000000004C8C: BF8CC87F
	v_mfma_f32_16x16x32_fp8_fp8 v[100:103], a[132:133], v[16:17], v[100:103]// 000000004C90: D3F30064 0D922184
	v_mfma_f32_16x16x32_fp8_fp8 v[104:107], a[148:149], v[16:17], v[104:107]// 000000004C98: D3F30068 0DA22194
	v_mfma_f32_16x16x32_fp8_fp8 v[100:103], a[134:135], v[18:19], v[100:103]// 000000004CA0: D3F30064 0D922586
	buffer_load_dwordx4 a[100:103], v237, s[16:19], 0 offen    // 000000004CA8: E05C1000 808464ED
	v_mfma_f32_16x16x32_fp8_fp8 v[104:107], a[150:151], v[18:19], v[104:107]// 000000004CB0: D3F30068 0DA22596
	s_waitcnt lgkmcnt(7)                                       // 000000004CB8: BF8CC77F
	v_mfma_f32_16x16x32_fp8_fp8 v[108:111], a[120:121], v[20:21], 0// 000000004CBC: D3F3006C 0A022978
	v_mfma_f32_16x16x32_fp8_fp8 v[112:115], a[136:137], v[20:21], 0// 000000004CC4: D3F30070 0A022988
	v_mfma_f32_16x16x32_fp8_fp8 v[108:111], a[122:123], v[22:23], v[108:111]// 000000004CCC: D3F3006C 0DB22D7A
	buffer_load_dwordx4 a[104:107], v234, s[16:19], 0 offen offset:1024// 000000004CD4: E05C1400 808468EA
	v_mfma_f32_16x16x32_fp8_fp8 v[112:115], a[138:139], v[22:23], v[112:115]// 000000004CDC: D3F30070 0DC22D8A
	s_waitcnt lgkmcnt(6)                                       // 000000004CE4: BF8CC67F
	v_mfma_f32_16x16x32_fp8_fp8 v[108:111], a[124:125], v[24:25], v[108:111]// 000000004CE8: D3F3006C 0DB2317C
	v_mfma_f32_16x16x32_fp8_fp8 v[112:115], a[140:141], v[24:25], v[112:115]// 000000004CF0: D3F30070 0DC2318C
	v_mfma_f32_16x16x32_fp8_fp8 v[108:111], a[126:127], v[26:27], v[108:111]// 000000004CF8: D3F3006C 0DB2357E
	buffer_load_dwordx4 a[108:111], v235, s[16:19], 0 offen offset:1024// 000000004D00: E05C1400 80846CEB
	v_mfma_f32_16x16x32_fp8_fp8 v[112:115], a[142:143], v[26:27], v[112:115]// 000000004D08: D3F30070 0DC2358E
	s_waitcnt lgkmcnt(5)                                       // 000000004D10: BF8CC57F
	v_mfma_f32_16x16x32_fp8_fp8 v[108:111], a[128:129], v[28:29], v[108:111]// 000000004D14: D3F3006C 0DB23980
	v_mfma_f32_16x16x32_fp8_fp8 v[112:115], a[144:145], v[28:29], v[112:115]// 000000004D1C: D3F30070 0DC23990
	v_mfma_f32_16x16x32_fp8_fp8 v[108:111], a[130:131], v[30:31], v[108:111]// 000000004D24: D3F3006C 0DB23D82
	buffer_load_dwordx4 a[112:115], v236, s[16:19], 0 offen offset:1024// 000000004D2C: E05C1400 808470EC
	v_mfma_f32_16x16x32_fp8_fp8 v[112:115], a[146:147], v[30:31], v[112:115]// 000000004D34: D3F30070 0DC23D92
	s_waitcnt lgkmcnt(4)                                       // 000000004D3C: BF8CC47F
	v_mfma_f32_16x16x32_fp8_fp8 v[108:111], a[132:133], v[32:33], v[108:111]// 000000004D40: D3F3006C 0DB24184
	v_mfma_f32_16x16x32_fp8_fp8 v[112:115], a[148:149], v[32:33], v[112:115]// 000000004D48: D3F30070 0DC24194
	v_mfma_f32_16x16x32_fp8_fp8 v[108:111], a[134:135], v[34:35], v[108:111]// 000000004D50: D3F3006C 0DB24586
	buffer_load_dwordx4 a[116:119], v237, s[16:19], 0 offen offset:1024// 000000004D58: E05C1400 808474ED
	v_mfma_f32_16x16x32_fp8_fp8 v[112:115], a[150:151], v[34:35], v[112:115]// 000000004D60: D3F30070 0DC24596
	s_waitcnt lgkmcnt(3)                                       // 000000004D68: BF8CC37F
	v_mfma_f32_16x16x32_fp8_fp8 v[116:119], a[120:121], v[36:37], 0// 000000004D6C: D3F30074 0A024978
	v_mfma_f32_16x16x32_fp8_fp8 v[120:123], a[136:137], v[36:37], 0// 000000004D74: D3F30078 0A024988
	v_mfma_f32_16x16x32_fp8_fp8 v[116:119], a[122:123], v[38:39], v[116:119]// 000000004D7C: D3F30074 0DD24D7A
	v_mfma_f32_16x16x32_fp8_fp8 v[120:123], a[138:139], v[38:39], v[120:123]// 000000004D84: D3F30078 0DE24D8A
	s_waitcnt lgkmcnt(2)                                       // 000000004D8C: BF8CC27F
	v_mfma_f32_16x16x32_fp8_fp8 v[116:119], a[124:125], v[40:41], v[116:119]// 000000004D90: D3F30074 0DD2517C
	v_mfma_f32_16x16x32_fp8_fp8 v[120:123], a[140:141], v[40:41], v[120:123]// 000000004D98: D3F30078 0DE2518C
	v_mfma_f32_16x16x32_fp8_fp8 v[116:119], a[126:127], v[42:43], v[116:119]// 000000004DA0: D3F30074 0DD2557E
	v_mfma_f32_16x16x32_fp8_fp8 v[120:123], a[142:143], v[42:43], v[120:123]// 000000004DA8: D3F30078 0DE2558E
	s_waitcnt lgkmcnt(1)                                       // 000000004DB0: BF8CC17F
	v_mfma_f32_16x16x32_fp8_fp8 v[116:119], a[128:129], v[44:45], v[116:119]// 000000004DB4: D3F30074 0DD25980
	v_mfma_f32_16x16x32_fp8_fp8 v[120:123], a[144:145], v[44:45], v[120:123]// 000000004DBC: D3F30078 0DE25990
	v_mfma_f32_16x16x32_fp8_fp8 v[116:119], a[130:131], v[46:47], v[116:119]// 000000004DC4: D3F30074 0DD25D82
	v_mfma_f32_16x16x32_fp8_fp8 v[120:123], a[146:147], v[46:47], v[120:123]// 000000004DCC: D3F30078 0DE25D92
	s_waitcnt lgkmcnt(0)                                       // 000000004DD4: BF8CC07F
	v_mfma_f32_16x16x32_fp8_fp8 v[116:119], a[132:133], v[48:49], v[116:119]// 000000004DD8: D3F30074 0DD26184
	v_mfma_f32_16x16x32_fp8_fp8 v[120:123], a[148:149], v[48:49], v[120:123]// 000000004DE0: D3F30078 0DE26194
	v_mfma_f32_16x16x32_fp8_fp8 v[116:119], a[134:135], v[50:51], v[116:119]// 000000004DE8: D3F30074 0DD26586
	v_mfma_f32_16x16x32_fp8_fp8 v[120:123], a[150:151], v[50:51], v[120:123]// 000000004DF0: D3F30078 0DE26596
	s_addk_i32 s49, 0x100                                      // 000000004DF8: B7310100
	s_cmp_lt_i32 s49, s50                                      // 000000004DFC: BF043231
	s_cbranch_scc0 label_2F79                                  // 000000004E00: BF842438
	s_waitcnt vmcnt(10)                                        // 000000004E04: BF8C0F7A
	v_mfma_f32_16x16x32_fp8_fp8 v[4:7], a[24:25], a[0:1], 0    // 000000004E08: D3F30004 1A020118
	s_add_u32 s12, s76, s64                                    // 000000004E10: 800C404C
	s_addc_u32 s13, s77, 0                                     // 000000004E14: 820D804D
	v_mfma_f32_16x16x32_fp8_fp8 v[4:7], a[26:27], a[2:3], v[4:7]// 000000004E18: D3F30004 1C12051A
	s_add_u32 s16, s78, s65                                    // 000000004E20: 8010414E
	s_addc_u32 s17, s79, 0                                     // 000000004E24: 8211804F
	v_mfma_f32_16x16x32_fp8_fp8 v[4:7], a[28:29], a[4:5], v[4:7]// 000000004E28: D3F30004 1C12091C
	buffer_load_dwordx4 a[56:59], v232, s[12:15], 0 offen      // 000000004E30: E05C1000 808338E8
	v_mfma_f32_16x16x32_fp8_fp8 v[4:7], a[30:31], a[6:7], v[4:7]// 000000004E38: D3F30004 1C120D1E
	s_add_u32 s28, s80, s66                                    // 000000004E40: 801C4250
	s_addc_u32 s29, s81, 0                                     // 000000004E44: 821D8051
	v_mfma_f32_16x16x32_fp8_fp8 v[8:11], a[32:33], a[0:1], 0   // 000000004E48: D3F30008 1A020120
	s_add_u32 s32, s82, s66                                    // 000000004E50: 80204252
	s_addc_u32 s33, s83, 0                                     // 000000004E54: 82218053
	v_mfma_f32_16x16x32_fp8_fp8 v[8:11], a[34:35], a[2:3], v[8:11]// 000000004E58: D3F30008 1C220522
	s_mul_i32 s64, s61, s56                                    // 000000004E60: 9240383D
	s_mov_b32 s65, s64                                         // 000000004E64: BEC10040
	v_mfma_f32_16x16x32_fp8_fp8 v[8:11], a[36:37], a[4:5], v[8:11]// 000000004E68: D3F30008 1C220924
	buffer_load_dwordx4 a[60:63], v233, s[12:15], 0 offen      // 000000004E70: E05C1000 80833CE9
	v_mfma_f32_16x16x32_fp8_fp8 v[8:11], a[38:39], a[6:7], v[8:11]// 000000004E78: D3F30008 1C220D26
	s_mul_i32 s66, s61, s58                                    // 000000004E80: 92423A3D
	v_mfma_f32_16x16x32_fp8_fp8 v[12:15], a[40:41], a[0:1], 0  // 000000004E84: D3F3000C 1A020128
	v_mfma_f32_16x16x32_fp8_fp8 v[12:15], a[42:43], a[2:3], v[12:15]// 000000004E8C: D3F3000C 1C32052A
	v_mfma_f32_16x16x32_fp8_fp8 v[12:15], a[44:45], a[4:5], v[12:15]// 000000004E94: D3F3000C 1C32092C
	buffer_load_dwordx4 a[64:67], v232, s[12:15], 0 offen offset:1024// 000000004E9C: E05C1400 808340E8
	v_mfma_f32_16x16x32_fp8_fp8 v[12:15], a[46:47], a[6:7], v[12:15]// 000000004EA4: D3F3000C 1C320D2E
	v_mfma_f32_16x16x32_fp8_fp8 v[16:19], a[48:49], a[0:1], 0  // 000000004EAC: D3F30010 1A020130
	v_mfma_f32_16x16x32_fp8_fp8 v[16:19], a[50:51], a[2:3], v[16:19]// 000000004EB4: D3F30010 1C420532
	v_mfma_f32_16x16x32_fp8_fp8 v[16:19], a[52:53], a[4:5], v[16:19]// 000000004EBC: D3F30010 1C420934
	buffer_load_dwordx4 a[68:71], v233, s[12:15], 0 offen offset:1024// 000000004EC4: E05C1400 808344E9
	v_mfma_f32_16x16x32_fp8_fp8 v[16:19], a[54:55], a[6:7], v[16:19]// 000000004ECC: D3F30010 1C420D36
	v_mfma_f32_16x16x32_fp8_fp8 v[20:23], a[24:25], a[8:9], 0  // 000000004ED4: D3F30014 1A021118
	v_mfma_f32_16x16x32_fp8_fp8 v[20:23], a[26:27], a[10:11], v[20:23]// 000000004EDC: D3F30014 1C52151A
	v_mfma_f32_16x16x32_fp8_fp8 v[20:23], a[28:29], a[12:13], v[20:23]// 000000004EE4: D3F30014 1C52191C
	buffer_load_dwordx4 a[72:75], v232, s[12:15], 0 offen offset:2048// 000000004EEC: E05C1800 808348E8
	v_mfma_f32_16x16x32_fp8_fp8 v[20:23], a[30:31], a[14:15], v[20:23]// 000000004EF4: D3F30014 1C521D1E
	v_mfma_f32_16x16x32_fp8_fp8 v[24:27], a[32:33], a[8:9], 0  // 000000004EFC: D3F30018 1A021120
	v_mfma_f32_16x16x32_fp8_fp8 v[24:27], a[34:35], a[10:11], v[24:27]// 000000004F04: D3F30018 1C621522
	v_mfma_f32_16x16x32_fp8_fp8 v[24:27], a[36:37], a[12:13], v[24:27]// 000000004F0C: D3F30018 1C621924
	buffer_load_dwordx4 a[76:79], v233, s[12:15], 0 offen offset:2048// 000000004F14: E05C1800 80834CE9
	v_mfma_f32_16x16x32_fp8_fp8 v[24:27], a[38:39], a[14:15], v[24:27]// 000000004F1C: D3F30018 1C621D26
	v_mfma_f32_16x16x32_fp8_fp8 v[28:31], a[40:41], a[8:9], 0  // 000000004F24: D3F3001C 1A021128
	v_mfma_f32_16x16x32_fp8_fp8 v[28:31], a[42:43], a[10:11], v[28:31]// 000000004F2C: D3F3001C 1C72152A
	v_mfma_f32_16x16x32_fp8_fp8 v[28:31], a[44:45], a[12:13], v[28:31]// 000000004F34: D3F3001C 1C72192C
	buffer_load_dwordx4 a[80:83], v232, s[12:15], 0 offen offset:3072// 000000004F3C: E05C1C00 808350E8
	v_mfma_f32_16x16x32_fp8_fp8 v[28:31], a[46:47], a[14:15], v[28:31]// 000000004F44: D3F3001C 1C721D2E
	v_mfma_f32_16x16x32_fp8_fp8 v[32:35], a[48:49], a[8:9], 0  // 000000004F4C: D3F30020 1A021130
	v_mfma_f32_16x16x32_fp8_fp8 v[32:35], a[50:51], a[10:11], v[32:35]// 000000004F54: D3F30020 1C821532
	v_mfma_f32_16x16x32_fp8_fp8 v[32:35], a[52:53], a[12:13], v[32:35]// 000000004F5C: D3F30020 1C821934
	buffer_load_dwordx4 a[84:87], v233, s[12:15], 0 offen offset:3072// 000000004F64: E05C1C00 808354E9
	v_mfma_f32_16x16x32_fp8_fp8 v[32:35], a[54:55], a[14:15], v[32:35]// 000000004F6C: D3F30020 1C821D36
	v_mfma_f32_16x16x32_fp8_fp8 v[36:39], a[24:25], a[16:17], 0// 000000004F74: D3F30024 1A022118
	v_mfma_f32_16x16x32_fp8_fp8 v[36:39], a[26:27], a[18:19], v[36:39]// 000000004F7C: D3F30024 1C92251A
	v_mfma_f32_16x16x32_fp8_fp8 v[36:39], a[28:29], a[20:21], v[36:39]// 000000004F84: D3F30024 1C92291C
	v_mfma_f32_16x16x32_fp8_fp8 v[36:39], a[30:31], a[22:23], v[36:39]// 000000004F8C: D3F30024 1C922D1E
	v_mfma_f32_16x16x32_fp8_fp8 v[40:43], a[32:33], a[16:17], 0// 000000004F94: D3F30028 1A022120
	v_mfma_f32_16x16x32_fp8_fp8 v[40:43], a[34:35], a[18:19], v[40:43]// 000000004F9C: D3F30028 1CA22522
	v_mfma_f32_16x16x32_fp8_fp8 v[40:43], a[36:37], a[20:21], v[40:43]// 000000004FA4: D3F30028 1CA22924
	v_mfma_f32_16x16x32_fp8_fp8 v[40:43], a[38:39], a[22:23], v[40:43]// 000000004FAC: D3F30028 1CA22D26
	v_mfma_f32_16x16x32_fp8_fp8 v[44:47], a[40:41], a[16:17], 0// 000000004FB4: D3F3002C 1A022128
	v_mfma_f32_16x16x32_fp8_fp8 v[44:47], a[42:43], a[18:19], v[44:47]// 000000004FBC: D3F3002C 1CB2252A
	v_mfma_f32_16x16x32_fp8_fp8 v[44:47], a[44:45], a[20:21], v[44:47]// 000000004FC4: D3F3002C 1CB2292C
	v_mfma_f32_16x16x32_fp8_fp8 v[44:47], a[46:47], a[22:23], v[44:47]// 000000004FCC: D3F3002C 1CB22D2E
	v_mfma_f32_16x16x32_fp8_fp8 v[48:51], a[48:49], a[16:17], 0// 000000004FD4: D3F30030 1A022130
	v_mfma_f32_16x16x32_fp8_fp8 v[48:51], a[50:51], a[18:19], v[48:51]// 000000004FDC: D3F30030 1CC22532
	v_mfma_f32_16x16x32_fp8_fp8 v[48:51], a[52:53], a[20:21], v[48:51]// 000000004FE4: D3F30030 1CC22934
	v_mfma_f32_16x16x32_fp8_fp8 v[48:51], a[54:55], a[22:23], v[48:51]// 000000004FEC: D3F30030 1CC22D36
	s_waitcnt vmcnt(16)                                        // 000000004FF4: BF8C4F70
	v_or_b32_dpp v36, v44, v36 row_shr:8 row_mask:0xf bank_mask:0xf bound_ctrl:1// 000000004FF8: 284848FA FF09182C
	v_or_b32_dpp v37, v45, v37 row_shr:8 row_mask:0xf bank_mask:0xf bound_ctrl:1// 000000005000: 284A4AFA FF09182D
	v_or_b32_dpp v38, v46, v38 row_shr:8 row_mask:0xf bank_mask:0xf bound_ctrl:1// 000000005008: 284C4CFA FF09182E
	v_or_b32_dpp v39, v47, v39 row_shr:8 row_mask:0xf bank_mask:0xf bound_ctrl:1// 000000005010: 284E4EFA FF09182F
	v_or_b32_dpp v40, v48, v40 row_shr:8 row_mask:0xf bank_mask:0xf bound_ctrl:1// 000000005018: 285050FA FF091830
	v_or_b32_dpp v41, v49, v41 row_shr:8 row_mask:0xf bank_mask:0xf bound_ctrl:1// 000000005020: 285252FA FF091831
	v_or_b32_dpp v42, v50, v42 row_shr:8 row_mask:0xf bank_mask:0xf bound_ctrl:1// 000000005028: 285454FA FF091832
	v_or_b32_dpp v43, v51, v43 row_shr:8 row_mask:0xf bank_mask:0xf bound_ctrl:1// 000000005030: 285656FA FF091833
	v_mov_b32_dpp v168, v154 row_shr:4 row_mask:0xf bank_mask:0xf// 000000005038: 7F5002FA FF01149A
	v_mov_b32_dpp v169, v154 row_shl:4 row_mask:0xf bank_mask:0xf// 000000005040: 7F5202FA FF01049A
	v_cndmask_b32_e64 v164, v154, v168, s[90:91]               // 000000005048: D10000A4 016B519A
	v_cndmask_b32_e64 v165, v169, v154, s[90:91]               // 000000005050: D10000A5 016B35A9
	v_mov_b32_dpp v168, v156 row_shr:4 row_mask:0xf bank_mask:0xf// 000000005058: 7F5002FA FF01149C
	v_mov_b32_dpp v169, v156 row_shl:4 row_mask:0xf bank_mask:0xf// 000000005060: 7F5202FA FF01049C
	v_cndmask_b32_e64 v166, v156, v168, s[90:91]               // 000000005068: D10000A6 016B519C
	v_cndmask_b32_e64 v167, v169, v156, s[90:91]               // 000000005070: D10000A7 016B39A9
	v_pk_mul_f32 v[4:5], v[148:149], v[4:5]                    // 000000005078: D3B14004 18020994
	v_pk_mul_f32 v[6:7], v[148:149], v[6:7]                    // 000000005080: D3B14006 18020D94
	v_pk_mul_f32 v[8:9], v[148:149], v[8:9]                    // 000000005088: D3B14008 18021194
	v_pk_mul_f32 v[10:11], v[148:149], v[10:11]                // 000000005090: D3B1400A 18021594
	v_pk_mul_f32 v[12:13], v[148:149], v[12:13]                // 000000005098: D3B1400C 18021994
	v_pk_mul_f32 v[14:15], v[148:149], v[14:15]                // 0000000050A0: D3B1400E 18021D94
	v_pk_mul_f32 v[16:17], v[148:149], v[16:17]                // 0000000050A8: D3B14010 18022194
	v_pk_mul_f32 v[18:19], v[148:149], v[18:19]                // 0000000050B0: D3B14012 18022594
	v_mul_f32_dpp v4, v154, v4 row_newbcast:0 row_mask:0xf bank_mask:0xf// 0000000050B8: 0A0808FA FF01509A
	v_mul_f32_dpp v5, v154, v5 row_newbcast:1 row_mask:0xf bank_mask:0xf// 0000000050C0: 0A0A0AFA FF01519A
	v_mul_f32_dpp v6, v154, v6 row_newbcast:2 row_mask:0xf bank_mask:0xf// 0000000050C8: 0A0C0CFA FF01529A
	v_mul_f32_dpp v7, v154, v7 row_newbcast:3 row_mask:0xf bank_mask:0xf// 0000000050D0: 0A0E0EFA FF01539A
	v_mul_f32_dpp v8, v154, v8 row_newbcast:4 row_mask:0xf bank_mask:0xf// 0000000050D8: 0A1010FA FF01549A
	v_mul_f32_dpp v9, v154, v9 row_newbcast:5 row_mask:0xf bank_mask:0xf// 0000000050E0: 0A1212FA FF01559A
	v_mul_f32_dpp v10, v154, v10 row_newbcast:6 row_mask:0xf bank_mask:0xf// 0000000050E8: 0A1414FA FF01569A
	v_mul_f32_dpp v11, v154, v11 row_newbcast:7 row_mask:0xf bank_mask:0xf// 0000000050F0: 0A1616FA FF01579A
	v_mul_f32_dpp v12, v154, v12 row_newbcast:8 row_mask:0xf bank_mask:0xf// 0000000050F8: 0A1818FA FF01589A
	v_mul_f32_dpp v13, v154, v13 row_newbcast:9 row_mask:0xf bank_mask:0xf// 000000005100: 0A1A1AFA FF01599A
	v_mul_f32_dpp v14, v154, v14 row_newbcast:10 row_mask:0xf bank_mask:0xf// 000000005108: 0A1C1CFA FF015A9A
	v_mul_f32_dpp v15, v154, v15 row_newbcast:11 row_mask:0xf bank_mask:0xf// 000000005110: 0A1E1EFA FF015B9A
	v_mul_f32_dpp v16, v154, v16 row_newbcast:12 row_mask:0xf bank_mask:0xf// 000000005118: 0A2020FA FF015C9A
	v_mul_f32_dpp v17, v154, v17 row_newbcast:13 row_mask:0xf bank_mask:0xf// 000000005120: 0A2222FA FF015D9A
	v_mul_f32_dpp v18, v154, v18 row_newbcast:14 row_mask:0xf bank_mask:0xf// 000000005128: 0A2424FA FF015E9A
	v_mul_f32_dpp v19, v154, v19 row_newbcast:15 row_mask:0xf bank_mask:0xf// 000000005130: 0A2626FA FF015F9A
	v_pk_mul_f32 v[20:21], v[150:151], v[20:21]                // 000000005138: D3B14014 18022996
	v_pk_mul_f32 v[22:23], v[150:151], v[22:23]                // 000000005140: D3B14016 18022D96
	v_pk_mul_f32 v[24:25], v[150:151], v[24:25]                // 000000005148: D3B14018 18023196
	v_pk_mul_f32 v[26:27], v[150:151], v[26:27]                // 000000005150: D3B1401A 18023596
	v_pk_mul_f32 v[28:29], v[150:151], v[28:29]                // 000000005158: D3B1401C 18023996
	v_pk_mul_f32 v[30:31], v[150:151], v[30:31]                // 000000005160: D3B1401E 18023D96
	v_pk_mul_f32 v[32:33], v[150:151], v[32:33]                // 000000005168: D3B14020 18024196
	v_pk_mul_f32 v[34:35], v[150:151], v[34:35]                // 000000005170: D3B14022 18024596
	v_mul_f32_dpp v20, v154, v20 row_newbcast:0 row_mask:0xf bank_mask:0xf// 000000005178: 0A2828FA FF01509A
	v_mul_f32_dpp v21, v154, v21 row_newbcast:1 row_mask:0xf bank_mask:0xf// 000000005180: 0A2A2AFA FF01519A
	v_mul_f32_dpp v22, v154, v22 row_newbcast:2 row_mask:0xf bank_mask:0xf// 000000005188: 0A2C2CFA FF01529A
	v_mul_f32_dpp v23, v154, v23 row_newbcast:3 row_mask:0xf bank_mask:0xf// 000000005190: 0A2E2EFA FF01539A
	v_mul_f32_dpp v24, v154, v24 row_newbcast:4 row_mask:0xf bank_mask:0xf// 000000005198: 0A3030FA FF01549A
	v_mul_f32_dpp v25, v154, v25 row_newbcast:5 row_mask:0xf bank_mask:0xf// 0000000051A0: 0A3232FA FF01559A
	v_mul_f32_dpp v26, v154, v26 row_newbcast:6 row_mask:0xf bank_mask:0xf// 0000000051A8: 0A3434FA FF01569A
	v_mul_f32_dpp v27, v154, v27 row_newbcast:7 row_mask:0xf bank_mask:0xf// 0000000051B0: 0A3636FA FF01579A
	v_mul_f32_dpp v28, v154, v28 row_newbcast:8 row_mask:0xf bank_mask:0xf// 0000000051B8: 0A3838FA FF01589A
	v_mul_f32_dpp v29, v154, v29 row_newbcast:9 row_mask:0xf bank_mask:0xf// 0000000051C0: 0A3A3AFA FF01599A
	v_mul_f32_dpp v30, v154, v30 row_newbcast:10 row_mask:0xf bank_mask:0xf// 0000000051C8: 0A3C3CFA FF015A9A
	v_mul_f32_dpp v31, v154, v31 row_newbcast:11 row_mask:0xf bank_mask:0xf// 0000000051D0: 0A3E3EFA FF015B9A
	v_mul_f32_dpp v32, v154, v32 row_newbcast:12 row_mask:0xf bank_mask:0xf// 0000000051D8: 0A4040FA FF015C9A
	v_mul_f32_dpp v33, v154, v33 row_newbcast:13 row_mask:0xf bank_mask:0xf// 0000000051E0: 0A4242FA FF015D9A
	v_mul_f32_dpp v34, v154, v34 row_newbcast:14 row_mask:0xf bank_mask:0xf// 0000000051E8: 0A4444FA FF015E9A
	v_mul_f32_dpp v35, v154, v35 row_newbcast:15 row_mask:0xf bank_mask:0xf// 0000000051F0: 0A4646FA FF015F9A
	v_pk_mul_f32 v[36:37], v[152:153], v[36:37]                // 0000000051F8: D3B14024 18024998
	v_pk_mul_f32 v[38:39], v[152:153], v[38:39]                // 000000005200: D3B14026 18024D98
	v_pk_mul_f32 v[40:41], v[152:153], v[40:41]                // 000000005208: D3B14028 18025198
	v_pk_mul_f32 v[42:43], v[152:153], v[42:43]                // 000000005210: D3B1402A 18025598
	v_mul_f32_dpp v36, v164, v36 quad_perm:[0,0,0,0] row_mask:0xf bank_mask:0xf// 000000005218: 0A4848FA FF0000A4
	v_mul_f32_dpp v37, v164, v37 quad_perm:[1,1,1,1] row_mask:0xf bank_mask:0xf// 000000005220: 0A4A4AFA FF0055A4
	v_mul_f32_dpp v38, v164, v38 quad_perm:[2,2,2,2] row_mask:0xf bank_mask:0xf// 000000005228: 0A4C4CFA FF00AAA4
	v_mul_f32_dpp v39, v164, v39 quad_perm:[3,3,3,3] row_mask:0xf bank_mask:0xf// 000000005230: 0A4E4EFA FF00FFA4
	v_mul_f32_dpp v40, v165, v40 quad_perm:[0,0,0,0] row_mask:0xf bank_mask:0xf// 000000005238: 0A5050FA FF0000A5
	v_mul_f32_dpp v41, v165, v41 quad_perm:[1,1,1,1] row_mask:0xf bank_mask:0xf// 000000005240: 0A5252FA FF0055A5
	v_mul_f32_dpp v42, v165, v42 quad_perm:[2,2,2,2] row_mask:0xf bank_mask:0xf// 000000005248: 0A5454FA FF00AAA5
	v_mul_f32_dpp v43, v165, v43 quad_perm:[3,3,3,3] row_mask:0xf bank_mask:0xf// 000000005250: 0A5656FA FF00FFA5
	v_mov_b32_e32 v190, v36                                    // 000000005258: 7F7C0324
	v_max3_f32 v190, v36, v37, v190                            // 00000000525C: D1D300BE 06FA4B24
	v_max3_f32 v190, v38, v39, v190                            // 000000005264: D1D300BE 06FA4F26
	v_max3_f32 v190, v40, v41, v190                            // 00000000526C: D1D300BE 06FA5328
	v_max3_f32 v190, v42, v43, v190                            // 000000005274: D1D300BE 06FA572A
	v_mov_b32_e32 v189, v20                                    // 00000000527C: 7F7A0314
	v_max3_f32 v189, v20, v21, v189                            // 000000005280: D1D300BD 06F62B14
	v_max3_f32 v189, v22, v23, v189                            // 000000005288: D1D300BD 06F62F16
	v_max3_f32 v189, v24, v25, v189                            // 000000005290: D1D300BD 06F63318
	v_max3_f32 v189, v26, v27, v189                            // 000000005298: D1D300BD 06F6371A
	v_max3_f32 v189, v28, v29, v189                            // 0000000052A0: D1D300BD 06F63B1C
	v_max3_f32 v189, v30, v31, v189                            // 0000000052A8: D1D300BD 06F63F1E
	v_max3_f32 v189, v32, v33, v189                            // 0000000052B0: D1D300BD 06F64320
	v_max3_f32 v189, v34, v35, v189                            // 0000000052B8: D1D300BD 06F64722
	v_mov_b32_e32 v188, v4                                     // 0000000052C0: 7F780304
	v_max3_f32 v188, v4, v5, v188                              // 0000000052C4: D1D300BC 06F20B04
	v_max3_f32 v188, v6, v7, v188                              // 0000000052CC: D1D300BC 06F20F06
	v_max3_f32 v188, v8, v9, v188                              // 0000000052D4: D1D300BC 06F21308
	v_max3_f32 v188, v10, v11, v188                            // 0000000052DC: D1D300BC 06F2170A
	v_max3_f32 v188, v12, v13, v188                            // 0000000052E4: D1D300BC 06F21B0C
	v_max3_f32 v188, v14, v15, v188                            // 0000000052EC: D1D300BC 06F21F0E
	v_max3_f32 v188, v16, v17, v188                            // 0000000052F4: D1D300BC 06F22310
	v_max3_f32 v188, v18, v19, v188                            // 0000000052FC: D1D300BC 06F22712
	v_max_f32_dpp v190, v190, v190 row_ror:8 row_mask:0xf bank_mask:0xf// 000000005304: 177D7CFA FF0128BE
	ds_bpermute_b32 v172, v212, v188                           // 00000000530C: D87E0000 AC00BCD4
	ds_bpermute_b32 v173, v213, v188                           // 000000005314: D87E0000 AD00BCD5
	ds_bpermute_b32 v174, v214, v188                           // 00000000531C: D87E0000 AE00BCD6
	ds_bpermute_b32 v175, v212, v189                           // 000000005324: D87E0000 AF00BDD4
	ds_bpermute_b32 v176, v213, v189                           // 00000000532C: D87E0000 B000BDD5
	ds_bpermute_b32 v177, v214, v189                           // 000000005334: D87E0000 B100BDD6
	ds_bpermute_b32 v178, v212, v190                           // 00000000533C: D87E0000 B200BED4
	ds_bpermute_b32 v179, v213, v190                           // 000000005344: D87E0000 B300BED5
	ds_bpermute_b32 v180, v214, v190                           // 00000000534C: D87E0000 B400BED6
	v_pk_mul_f32 v[124:125], v[200:201], v[124:125]            // 000000005354: D3B1407C 1802F9C8
	v_pk_mul_f32 v[126:127], v[200:201], v[126:127]            // 00000000535C: D3B1407E 1802FDC8
	v_pk_mul_f32 v[128:129], v[200:201], v[128:129]            // 000000005364: D3B14080 180301C8
	v_pk_mul_f32 v[130:131], v[200:201], v[130:131]            // 00000000536C: D3B14082 180305C8
	v_pk_mul_f32 v[132:133], v[202:203], v[132:133]            // 000000005374: D3B14084 180309CA
	v_pk_mul_f32 v[134:135], v[202:203], v[134:135]            // 00000000537C: D3B14086 18030DCA
	v_pk_mul_f32 v[136:137], v[202:203], v[136:137]            // 000000005384: D3B14088 180311CA
	v_pk_mul_f32 v[138:139], v[202:203], v[138:139]            // 00000000538C: D3B1408A 180315CA
	v_pk_mul_f32 v[140:141], v[204:205], v[140:141]            // 000000005394: D3B1408C 180319CC
	v_pk_mul_f32 v[142:143], v[204:205], v[142:143]            // 00000000539C: D3B1408E 18031DCC
	v_pk_mul_f32 v[144:145], v[204:205], v[144:145]            // 0000000053A4: D3B14090 180321CC
	v_pk_mul_f32 v[146:147], v[204:205], v[146:147]            // 0000000053AC: D3B14092 180325CC
	s_waitcnt lgkmcnt(6)                                       // 0000000053B4: BF8CC67F
	v_max3_f32 v188, v172, v173, v188                          // 0000000053B8: D1D300BC 06F35BAC
	v_max_f32_e32 v188, v174, v188                             // 0000000053C0: 177979AE
	s_waitcnt lgkmcnt(3)                                       // 0000000053C4: BF8CC37F
	v_max3_f32 v189, v175, v176, v189                          // 0000000053C8: D1D300BD 06F761AF
	v_max_f32_e32 v189, v177, v189                             // 0000000053D0: 177B7BB1
	s_waitcnt lgkmcnt(0)                                       // 0000000053D4: BF8CC07F
	v_max3_f32 v190, v178, v179, v190                          // 0000000053D8: D1D300BE 06FB67B2
	v_max_f32_e32 v190, v180, v190                             // 0000000053E0: 177D7DB4
	ds_write_b128 v246, v[188:191]                             // 0000000053E4: D9BE0000 0000BCF6
	s_waitcnt lgkmcnt(0)                                       // 0000000053EC: BF8CC07F
	s_barrier                                                  // 0000000053F0: BF8A0000
	ds_read_b128 v[172:175], v247                              // 0000000053F4: D9FE0000 AC0000F7
	ds_read_b128 v[176:179], v247 offset:256                   // 0000000053FC: D9FE0100 B00000F7
	ds_read_b128 v[180:183], v247 offset:512                   // 000000005404: D9FE0200 B40000F7
	ds_read_b128 v[184:187], v247 offset:768                   // 00000000540C: D9FE0300 B80000F7
	v_pk_mul_f32 v[100:101], v[158:159], v[100:101]            // 000000005414: D3B14064 1802C99E
	v_pk_mul_f32 v[102:103], v[158:159], v[102:103]            // 00000000541C: D3B14066 1802CD9E
	v_pk_mul_f32 v[104:105], v[158:159], v[104:105]            // 000000005424: D3B14068 1802D19E
	v_pk_mul_f32 v[106:107], v[158:159], v[106:107]            // 00000000542C: D3B1406A 1802D59E
	v_pk_mul_f32 v[108:109], v[160:161], v[108:109]            // 000000005434: D3B1406C 1802D9A0
	v_pk_mul_f32 v[110:111], v[160:161], v[110:111]            // 00000000543C: D3B1406E 1802DDA0
	v_pk_mul_f32 v[112:113], v[160:161], v[112:113]            // 000000005444: D3B14070 1802E1A0
	v_pk_mul_f32 v[114:115], v[160:161], v[114:115]            // 00000000544C: D3B14072 1802E5A0
	v_pk_mul_f32 v[116:117], v[162:163], v[116:117]            // 000000005454: D3B14074 1802E9A2
	v_pk_mul_f32 v[118:119], v[162:163], v[118:119]            // 00000000545C: D3B14076 1802EDA2
	v_pk_mul_f32 v[120:121], v[162:163], v[120:121]            // 000000005464: D3B14078 1802F1A2
	v_pk_mul_f32 v[122:123], v[162:163], v[122:123]            // 00000000546C: D3B1407A 1802F5A2
	s_waitcnt lgkmcnt(0)                                       // 000000005474: BF8CC07F
	v_max3_f32 v188, v172, v176, v188                          // 000000005478: D1D300BC 06F361AC
	v_max3_f32 v189, v173, v177, v189                          // 000000005480: D1D300BD 06F763AD
	v_max3_f32 v190, v174, v178, v190                          // 000000005488: D1D300BE 06FB65AE
	v_max3_f32 v188, v180, v184, v188                          // 000000005490: D1D300BC 06F371B4
	v_max3_f32 v189, v181, v185, v189                          // 000000005498: D1D300BD 06F773B5
	v_max3_f32 v190, v182, v186, v190                          // 0000000054A0: D1D300BE 06FB75B6
	v_max_f32_e32 v197, v188, v194                             // 0000000054A8: 178B85BC
	v_mul_f32_e64 v168, -s51, v197                             // 0000000054AC: D10500A8 20038A33
	v_mov_b32_e32 v169, v168                                   // 0000000054B4: 7F5203A8
	v_pk_fma_f32 v[4:5], v[4:5], s[86:87], v[168:169]          // 0000000054B8: D3B04004 1EA0AD04
	v_pk_fma_f32 v[6:7], v[6:7], s[86:87], v[168:169]          // 0000000054C0: D3B04006 1EA0AD06
	v_exp_f32_e32 v4, v4                                       // 0000000054C8: 7E084104
	v_exp_f32_e32 v5, v5                                       // 0000000054CC: 7E0A4105
	v_exp_f32_e32 v6, v6                                       // 0000000054D0: 7E0C4106
	v_exp_f32_e32 v7, v7                                       // 0000000054D4: 7E0E4107
	v_pk_fma_f32 v[8:9], v[8:9], s[86:87], v[168:169]          // 0000000054D8: D3B04008 1EA0AD08
	v_pk_fma_f32 v[10:11], v[10:11], s[86:87], v[168:169]      // 0000000054E0: D3B0400A 1EA0AD0A
	v_exp_f32_e32 v8, v8                                       // 0000000054E8: 7E104108
	v_exp_f32_e32 v9, v9                                       // 0000000054EC: 7E124109
	v_exp_f32_e32 v10, v10                                     // 0000000054F0: 7E14410A
	v_exp_f32_e32 v11, v11                                     // 0000000054F4: 7E16410B
	v_pk_fma_f32 v[12:13], v[12:13], s[86:87], v[168:169]      // 0000000054F8: D3B0400C 1EA0AD0C
	v_pk_fma_f32 v[14:15], v[14:15], s[86:87], v[168:169]      // 000000005500: D3B0400E 1EA0AD0E
	v_exp_f32_e32 v12, v12                                     // 000000005508: 7E18410C
	v_exp_f32_e32 v13, v13                                     // 00000000550C: 7E1A410D
	v_exp_f32_e32 v14, v14                                     // 000000005510: 7E1C410E
	v_exp_f32_e32 v15, v15                                     // 000000005514: 7E1E410F
	v_pk_fma_f32 v[16:17], v[16:17], s[86:87], v[168:169]      // 000000005518: D3B04010 1EA0AD10
	v_pk_fma_f32 v[18:19], v[18:19], s[86:87], v[168:169]      // 000000005520: D3B04012 1EA0AD12
	v_exp_f32_e32 v16, v16                                     // 000000005528: 7E204110
	v_exp_f32_e32 v17, v17                                     // 00000000552C: 7E224111
	v_exp_f32_e32 v18, v18                                     // 000000005530: 7E244112
	v_exp_f32_e32 v19, v19                                     // 000000005534: 7E264113
	v_max_f32_e32 v198, v189, v195                             // 000000005538: 178D87BD
	v_mul_f32_e64 v168, -s51, v198                             // 00000000553C: D10500A8 20038C33
	v_mov_b32_e32 v169, v168                                   // 000000005544: 7F5203A8
	v_pk_fma_f32 v[20:21], v[20:21], s[86:87], v[168:169]      // 000000005548: D3B04014 1EA0AD14
	v_pk_fma_f32 v[22:23], v[22:23], s[86:87], v[168:169]      // 000000005550: D3B04016 1EA0AD16
	v_exp_f32_e32 v20, v20                                     // 000000005558: 7E284114
	v_exp_f32_e32 v21, v21                                     // 00000000555C: 7E2A4115
	v_exp_f32_e32 v22, v22                                     // 000000005560: 7E2C4116
	v_exp_f32_e32 v23, v23                                     // 000000005564: 7E2E4117
	v_pk_fma_f32 v[24:25], v[24:25], s[86:87], v[168:169]      // 000000005568: D3B04018 1EA0AD18
	v_pk_fma_f32 v[26:27], v[26:27], s[86:87], v[168:169]      // 000000005570: D3B0401A 1EA0AD1A
	v_exp_f32_e32 v24, v24                                     // 000000005578: 7E304118
	v_exp_f32_e32 v25, v25                                     // 00000000557C: 7E324119
	v_exp_f32_e32 v26, v26                                     // 000000005580: 7E34411A
	v_exp_f32_e32 v27, v27                                     // 000000005584: 7E36411B
	v_pk_fma_f32 v[28:29], v[28:29], s[86:87], v[168:169]      // 000000005588: D3B0401C 1EA0AD1C
	v_pk_fma_f32 v[30:31], v[30:31], s[86:87], v[168:169]      // 000000005590: D3B0401E 1EA0AD1E
	v_exp_f32_e32 v28, v28                                     // 000000005598: 7E38411C
	v_exp_f32_e32 v29, v29                                     // 00000000559C: 7E3A411D
	v_exp_f32_e32 v30, v30                                     // 0000000055A0: 7E3C411E
	v_exp_f32_e32 v31, v31                                     // 0000000055A4: 7E3E411F
	v_pk_fma_f32 v[32:33], v[32:33], s[86:87], v[168:169]      // 0000000055A8: D3B04020 1EA0AD20
	v_pk_fma_f32 v[34:35], v[34:35], s[86:87], v[168:169]      // 0000000055B0: D3B04022 1EA0AD22
	v_exp_f32_e32 v32, v32                                     // 0000000055B8: 7E404120
	v_exp_f32_e32 v33, v33                                     // 0000000055BC: 7E424121
	v_exp_f32_e32 v34, v34                                     // 0000000055C0: 7E444122
	v_exp_f32_e32 v35, v35                                     // 0000000055C4: 7E464123
	v_max_f32_e32 v199, v190, v196                             // 0000000055C8: 178F89BE
	v_mul_f32_e64 v168, -s51, v199                             // 0000000055CC: D10500A8 20038E33
	v_mov_b32_e32 v169, v168                                   // 0000000055D4: 7F5203A8
	v_pk_fma_f32 v[36:37], v[36:37], s[86:87], v[168:169]      // 0000000055D8: D3B04024 1EA0AD24
	v_pk_fma_f32 v[38:39], v[38:39], s[86:87], v[168:169]      // 0000000055E0: D3B04026 1EA0AD26
	v_exp_f32_e32 v36, v36                                     // 0000000055E8: 7E484124
	v_exp_f32_e32 v37, v37                                     // 0000000055EC: 7E4A4125
	v_exp_f32_e32 v38, v38                                     // 0000000055F0: 7E4C4126
	v_exp_f32_e32 v39, v39                                     // 0000000055F4: 7E4E4127
	v_pk_fma_f32 v[40:41], v[40:41], s[86:87], v[168:169]      // 0000000055F8: D3B04028 1EA0AD28
	v_pk_fma_f32 v[42:43], v[42:43], s[86:87], v[168:169]      // 000000005600: D3B0402A 1EA0AD2A
	v_exp_f32_e32 v40, v40                                     // 000000005608: 7E504128
	v_exp_f32_e32 v41, v41                                     // 00000000560C: 7E524129
	v_exp_f32_e32 v42, v42                                     // 000000005610: 7E54412A
	v_exp_f32_e32 v43, v43                                     // 000000005614: 7E56412B
	v_mul_f32_dpp v52, v156, v4 row_newbcast:0 row_mask:0xf bank_mask:0xf// 000000005618: 0A6808FA FF01509C
	v_mul_f32_dpp v53, v156, v5 row_newbcast:1 row_mask:0xf bank_mask:0xf// 000000005620: 0A6A0AFA FF01519C
	v_mul_f32_dpp v54, v156, v6 row_newbcast:2 row_mask:0xf bank_mask:0xf// 000000005628: 0A6C0CFA FF01529C
	v_mul_f32_dpp v55, v156, v7 row_newbcast:3 row_mask:0xf bank_mask:0xf// 000000005630: 0A6E0EFA FF01539C
	v_mul_f32_dpp v56, v156, v8 row_newbcast:4 row_mask:0xf bank_mask:0xf// 000000005638: 0A7010FA FF01549C
	v_mul_f32_dpp v57, v156, v9 row_newbcast:5 row_mask:0xf bank_mask:0xf// 000000005640: 0A7212FA FF01559C
	v_mul_f32_dpp v58, v156, v10 row_newbcast:6 row_mask:0xf bank_mask:0xf// 000000005648: 0A7414FA FF01569C
	v_mul_f32_dpp v59, v156, v11 row_newbcast:7 row_mask:0xf bank_mask:0xf// 000000005650: 0A7616FA FF01579C
	v_mul_f32_dpp v60, v156, v12 row_newbcast:8 row_mask:0xf bank_mask:0xf// 000000005658: 0A7818FA FF01589C
	v_mul_f32_dpp v61, v156, v13 row_newbcast:9 row_mask:0xf bank_mask:0xf// 000000005660: 0A7A1AFA FF01599C
	v_mul_f32_dpp v62, v156, v14 row_newbcast:10 row_mask:0xf bank_mask:0xf// 000000005668: 0A7C1CFA FF015A9C
	v_mul_f32_dpp v63, v156, v15 row_newbcast:11 row_mask:0xf bank_mask:0xf// 000000005670: 0A7E1EFA FF015B9C
	v_mul_f32_dpp v64, v156, v16 row_newbcast:12 row_mask:0xf bank_mask:0xf// 000000005678: 0A8020FA FF015C9C
	v_mul_f32_dpp v65, v156, v17 row_newbcast:13 row_mask:0xf bank_mask:0xf// 000000005680: 0A8222FA FF015D9C
	v_mul_f32_dpp v66, v156, v18 row_newbcast:14 row_mask:0xf bank_mask:0xf// 000000005688: 0A8424FA FF015E9C
	v_mul_f32_dpp v67, v156, v19 row_newbcast:15 row_mask:0xf bank_mask:0xf// 000000005690: 0A8626FA FF015F9C
	v_mul_f32_dpp v68, v156, v20 row_newbcast:0 row_mask:0xf bank_mask:0xf// 000000005698: 0A8828FA FF01509C
	v_mul_f32_dpp v69, v156, v21 row_newbcast:1 row_mask:0xf bank_mask:0xf// 0000000056A0: 0A8A2AFA FF01519C
	v_mul_f32_dpp v70, v156, v22 row_newbcast:2 row_mask:0xf bank_mask:0xf// 0000000056A8: 0A8C2CFA FF01529C
	v_mul_f32_dpp v71, v156, v23 row_newbcast:3 row_mask:0xf bank_mask:0xf// 0000000056B0: 0A8E2EFA FF01539C
	v_mul_f32_dpp v72, v156, v24 row_newbcast:4 row_mask:0xf bank_mask:0xf// 0000000056B8: 0A9030FA FF01549C
	v_mul_f32_dpp v73, v156, v25 row_newbcast:5 row_mask:0xf bank_mask:0xf// 0000000056C0: 0A9232FA FF01559C
	v_mul_f32_dpp v74, v156, v26 row_newbcast:6 row_mask:0xf bank_mask:0xf// 0000000056C8: 0A9434FA FF01569C
	v_mul_f32_dpp v75, v156, v27 row_newbcast:7 row_mask:0xf bank_mask:0xf// 0000000056D0: 0A9636FA FF01579C
	v_mul_f32_dpp v76, v156, v28 row_newbcast:8 row_mask:0xf bank_mask:0xf// 0000000056D8: 0A9838FA FF01589C
	v_mul_f32_dpp v77, v156, v29 row_newbcast:9 row_mask:0xf bank_mask:0xf// 0000000056E0: 0A9A3AFA FF01599C
	v_mul_f32_dpp v78, v156, v30 row_newbcast:10 row_mask:0xf bank_mask:0xf// 0000000056E8: 0A9C3CFA FF015A9C
	v_mul_f32_dpp v79, v156, v31 row_newbcast:11 row_mask:0xf bank_mask:0xf// 0000000056F0: 0A9E3EFA FF015B9C
	v_mul_f32_dpp v80, v156, v32 row_newbcast:12 row_mask:0xf bank_mask:0xf// 0000000056F8: 0AA040FA FF015C9C
	v_mul_f32_dpp v81, v156, v33 row_newbcast:13 row_mask:0xf bank_mask:0xf// 000000005700: 0AA242FA FF015D9C
	v_mul_f32_dpp v82, v156, v34 row_newbcast:14 row_mask:0xf bank_mask:0xf// 000000005708: 0AA444FA FF015E9C
	v_mul_f32_dpp v83, v156, v35 row_newbcast:15 row_mask:0xf bank_mask:0xf// 000000005710: 0AA646FA FF015F9C
	v_mul_f32_dpp v84, v166, v36 quad_perm:[0,0,0,0] row_mask:0xf bank_mask:0xf// 000000005718: 0AA848FA FF0000A6
	v_mul_f32_dpp v85, v166, v37 quad_perm:[1,1,1,1] row_mask:0xf bank_mask:0xf// 000000005720: 0AAA4AFA FF0055A6
	v_mul_f32_dpp v86, v166, v38 quad_perm:[2,2,2,2] row_mask:0xf bank_mask:0xf// 000000005728: 0AAC4CFA FF00AAA6
	v_mul_f32_dpp v87, v166, v39 quad_perm:[3,3,3,3] row_mask:0xf bank_mask:0xf// 000000005730: 0AAE4EFA FF00FFA6
	v_mul_f32_dpp v88, v167, v40 quad_perm:[0,0,0,0] row_mask:0xf bank_mask:0xf// 000000005738: 0AB050FA FF0000A7
	v_mul_f32_dpp v89, v167, v41 quad_perm:[1,1,1,1] row_mask:0xf bank_mask:0xf// 000000005740: 0AB252FA FF0055A7
	v_mul_f32_dpp v90, v167, v42 quad_perm:[2,2,2,2] row_mask:0xf bank_mask:0xf// 000000005748: 0AB454FA FF00AAA7
	v_mul_f32_dpp v91, v167, v43 quad_perm:[3,3,3,3] row_mask:0xf bank_mask:0xf// 000000005750: 0AB656FA FF00FFA7
	v_mov_b32_e32 v190, 0x358637bd                             // 000000005758: 7F7C02FF 358637BD
	v_max3_f32 v190, |v84|, |v85|, v190                        // 000000005760: D1D303BE 06FAAB54
	v_max3_f32 v190, |v86|, |v87|, v190                        // 000000005768: D1D303BE 06FAAF56
	v_max3_f32 v190, |v88|, |v89|, v190                        // 000000005770: D1D303BE 06FAB358
	v_max3_f32 v190, |v90|, |v91|, v190                        // 000000005778: D1D303BE 06FAB75A
	v_mov_b32_e32 v189, 0x358637bd                             // 000000005780: 7F7A02FF 358637BD
	v_max3_f32 v189, |v68|, |v69|, v189                        // 000000005788: D1D303BD 06F68B44
	v_max3_f32 v189, |v70|, |v71|, v189                        // 000000005790: D1D303BD 06F68F46
	v_max3_f32 v189, |v72|, |v73|, v189                        // 000000005798: D1D303BD 06F69348
	v_max3_f32 v189, |v74|, |v75|, v189                        // 0000000057A0: D1D303BD 06F6974A
	v_max3_f32 v189, |v76|, |v77|, v189                        // 0000000057A8: D1D303BD 06F69B4C
	v_max3_f32 v189, |v78|, |v79|, v189                        // 0000000057B0: D1D303BD 06F69F4E
	v_max3_f32 v189, |v80|, |v81|, v189                        // 0000000057B8: D1D303BD 06F6A350
	v_max3_f32 v189, |v82|, |v83|, v189                        // 0000000057C0: D1D303BD 06F6A752
	v_mov_b32_e32 v188, 0x358637bd                             // 0000000057C8: 7F7802FF 358637BD
	v_max3_f32 v188, |v52|, |v53|, v188                        // 0000000057D0: D1D303BC 06F26B34
	v_max3_f32 v188, |v54|, |v55|, v188                        // 0000000057D8: D1D303BC 06F26F36
	v_max3_f32 v188, |v56|, |v57|, v188                        // 0000000057E0: D1D303BC 06F27338
	v_max3_f32 v188, |v58|, |v59|, v188                        // 0000000057E8: D1D303BC 06F2773A
	v_max3_f32 v188, |v60|, |v61|, v188                        // 0000000057F0: D1D303BC 06F27B3C
	v_max3_f32 v188, |v62|, |v63|, v188                        // 0000000057F8: D1D303BC 06F27F3E
	v_max3_f32 v188, |v64|, |v65|, v188                        // 000000005800: D1D303BC 06F28340
	v_max3_f32 v188, |v66|, |v67|, v188                        // 000000005808: D1D303BC 06F28742
	v_max_f32_dpp v190, v190, v190 row_ror:8 row_mask:0xf bank_mask:0xf// 000000005810: 177D7CFA FF0128BE
	ds_bpermute_b32 v172, v212, v188                           // 000000005818: D87E0000 AC00BCD4
	ds_bpermute_b32 v173, v213, v188                           // 000000005820: D87E0000 AD00BCD5
	ds_bpermute_b32 v174, v214, v188                           // 000000005828: D87E0000 AE00BCD6
	ds_bpermute_b32 v175, v212, v189                           // 000000005830: D87E0000 AF00BDD4
	ds_bpermute_b32 v176, v213, v189                           // 000000005838: D87E0000 B000BDD5
	ds_bpermute_b32 v177, v214, v189                           // 000000005840: D87E0000 B100BDD6
	ds_bpermute_b32 v178, v212, v190                           // 000000005848: D87E0000 B200BED4
	ds_bpermute_b32 v179, v213, v190                           // 000000005850: D87E0000 B300BED5
	ds_bpermute_b32 v180, v214, v190                           // 000000005858: D87E0000 B400BED6
	s_waitcnt lgkmcnt(6)                                       // 000000005860: BF8CC67F
	v_max3_f32 v188, v172, v173, v188                          // 000000005864: D1D300BC 06F35BAC
	v_max_f32_e32 v188, v174, v188                             // 00000000586C: 177979AE
	s_waitcnt lgkmcnt(3)                                       // 000000005870: BF8CC37F
	v_max3_f32 v189, v175, v176, v189                          // 000000005874: D1D300BD 06F761AF
	v_max_f32_e32 v189, v177, v189                             // 00000000587C: 177B7BB1
	s_waitcnt lgkmcnt(0)                                       // 000000005880: BF8CC07F
	v_max3_f32 v190, v178, v179, v190                          // 000000005884: D1D300BE 06FB67B2
	v_max_f32_e32 v190, v180, v190                             // 00000000588C: 177D7DB4
	ds_write_b128 v246, v[188:191] offset:4096                 // 000000005890: D9BE1000 0000BCF6
	buffer_load_dword v155, v238, s[28:31], 0 offen            // 000000005898: E0501000 80079BEE
	v_sub_f32_e32 v200, v194, v197                             // 0000000058A0: 05918BC2
	v_cmp_eq_u32_e64 s[84:85], v225, v194                      // 0000000058A4: D0CA0054 000385E1
	v_cndmask_b32_e64 v200, v200, 0, s[84:85]                  // 0000000058AC: D10000C8 015101C8
	v_mov_b32_e32 v194, v197                                   // 0000000058B4: 7F8403C5
	v_mul_f32_e32 v200, s51, v200                              // 0000000058B8: 0B919033
	v_exp_f32_e32 v200, v200                                   // 0000000058BC: 7F9041C8
	v_sub_f32_e32 v202, v195, v198                             // 0000000058C0: 05958DC3
	v_cmp_eq_u32_e64 s[84:85], v225, v195                      // 0000000058C4: D0CA0054 000387E1
	v_cndmask_b32_e64 v202, v202, 0, s[84:85]                  // 0000000058CC: D10000CA 015101CA
	v_mov_b32_e32 v195, v198                                   // 0000000058D4: 7F8603C6
	v_mul_f32_e32 v202, s51, v202                              // 0000000058D8: 0B959433
	v_exp_f32_e32 v202, v202                                   // 0000000058DC: 7F9441CA
	v_sub_f32_e32 v204, v196, v199                             // 0000000058E0: 05998FC4
	v_cmp_eq_u32_e64 s[84:85], v225, v196                      // 0000000058E4: D0CA0054 000389E1
	v_cndmask_b32_e64 v204, v204, 0, s[84:85]                  // 0000000058EC: D10000CC 015101CC
	v_mov_b32_e32 v196, v199                                   // 0000000058F4: 7F8803C7
	v_mul_f32_e32 v204, s51, v204                              // 0000000058F8: 0B999833
	v_exp_f32_e32 v204, v204                                   // 0000000058FC: 7F9841CC
	v_mov_b32_e32 v201, v200                                   // 000000005900: 7F9203C8
	v_mov_b32_e32 v203, v202                                   // 000000005904: 7F9603CA
	v_mov_b32_e32 v205, v204                                   // 000000005908: 7F9A03CC
	s_waitcnt lgkmcnt(0)                                       // 00000000590C: BF8CC07F
	s_barrier                                                  // 000000005910: BF8A0000
	ds_read_b128 v[172:175], v247 offset:4096                  // 000000005914: D9FE1000 AC0000F7
	ds_read_b128 v[176:179], v247 offset:4352                  // 00000000591C: D9FE1100 B00000F7
	ds_read_b128 v[180:183], v247 offset:4608                  // 000000005924: D9FE1200 B40000F7
	ds_read_b128 v[184:187], v247 offset:4864                  // 00000000592C: D9FE1300 B80000F7
	buffer_load_dword v157, v239, s[32:35], 0 offen            // 000000005934: E0501000 80089DEF
	v_mul_f32_e32 v206, v200, v206                             // 00000000593C: 0B9D9DC8
	v_mov_b32_e32 v207, 0                                      // 000000005940: 7F9E0280
	v_pk_add_f32 v[206:207], v[4:5], v[206:207]                // 000000005944: D3B240CE 18039D04
	v_pk_add_f32 v[206:207], v[6:7], v[206:207]                // 00000000594C: D3B240CE 18039D06
	v_pk_add_f32 v[206:207], v[8:9], v[206:207]                // 000000005954: D3B240CE 18039D08
	v_pk_add_f32 v[206:207], v[10:11], v[206:207]              // 00000000595C: D3B240CE 18039D0A
	v_pk_add_f32 v[206:207], v[12:13], v[206:207]              // 000000005964: D3B240CE 18039D0C
	v_pk_add_f32 v[206:207], v[14:15], v[206:207]              // 00000000596C: D3B240CE 18039D0E
	v_pk_add_f32 v[206:207], v[16:17], v[206:207]              // 000000005974: D3B240CE 18039D10
	v_pk_add_f32 v[206:207], v[18:19], v[206:207]              // 00000000597C: D3B240CE 18039D12
	v_add_f32_e32 v206, v207, v206                             // 000000005984: 039D9DCF
	v_mul_f32_e32 v208, v202, v208                             // 000000005988: 0BA1A1CA
	v_mov_b32_e32 v209, 0                                      // 00000000598C: 7FA20280
	v_pk_add_f32 v[208:209], v[20:21], v[208:209]              // 000000005990: D3B240D0 1803A114
	v_pk_add_f32 v[208:209], v[22:23], v[208:209]              // 000000005998: D3B240D0 1803A116
	v_pk_add_f32 v[208:209], v[24:25], v[208:209]              // 0000000059A0: D3B240D0 1803A118
	v_pk_add_f32 v[208:209], v[26:27], v[208:209]              // 0000000059A8: D3B240D0 1803A11A
	v_pk_add_f32 v[208:209], v[28:29], v[208:209]              // 0000000059B0: D3B240D0 1803A11C
	v_pk_add_f32 v[208:209], v[30:31], v[208:209]              // 0000000059B8: D3B240D0 1803A11E
	v_pk_add_f32 v[208:209], v[32:33], v[208:209]              // 0000000059C0: D3B240D0 1803A120
	v_pk_add_f32 v[208:209], v[34:35], v[208:209]              // 0000000059C8: D3B240D0 1803A122
	v_add_f32_e32 v208, v209, v208                             // 0000000059D0: 03A1A1D1
	v_mul_f32_e32 v210, v204, v210                             // 0000000059D4: 0BA5A5CC
	v_mov_b32_e32 v211, 0                                      // 0000000059D8: 7FA60280
	v_pk_add_f32 v[210:211], v[36:37], v[210:211]              // 0000000059DC: D3B240D2 1803A524
	v_pk_add_f32 v[210:211], v[38:39], v[210:211]              // 0000000059E4: D3B240D2 1803A526
	v_pk_add_f32 v[210:211], v[40:41], v[210:211]              // 0000000059EC: D3B240D2 1803A528
	v_pk_add_f32 v[210:211], v[42:43], v[210:211]              // 0000000059F4: D3B240D2 1803A52A
	v_add_f32_e32 v210, v211, v210                             // 0000000059FC: 03A5A5D3
	s_waitcnt lgkmcnt(0)                                       // 000000005A00: BF8CC07F
	v_max3_f32 v188, v172, v176, v188                          // 000000005A04: D1D300BC 06F361AC
	v_max3_f32 v189, v173, v177, v189                          // 000000005A0C: D1D300BD 06F763AD
	v_max3_f32 v190, v174, v178, v190                          // 000000005A14: D1D300BE 06FB65AE
	v_max3_f32 v188, v180, v184, v188                          // 000000005A1C: D1D300BC 06F371B4
	v_max3_f32 v189, v181, v185, v189                          // 000000005A24: D1D300BD 06F773B5
	v_max3_f32 v190, v182, v186, v190                          // 000000005A2C: D1D300BE 06FB75B6
	v_rcp_f32_e32 v188, v188                                   // 000000005A34: 7F7845BC
	v_rcp_f32_e32 v189, v189                                   // 000000005A38: 7F7A45BD
	v_rcp_f32_e32 v190, v190                                   // 000000005A3C: 7F7C45BE
	v_mul_f32_e32 v188, 0x43700000, v188                       // 000000005A40: 0B7978FF 43700000
	v_mul_f32_e32 v189, 0x43700000, v189                       // 000000005A48: 0B7B7AFF 43700000
	v_mul_f32_e32 v190, 0x43700000, v190                       // 000000005A50: 0B7D7CFF 43700000
	v_mov_b32_e32 v192, v190                                   // 000000005A58: 7F8003BE
	v_mov_b32_e32 v193, v190                                   // 000000005A5C: 7F8203BE
	v_mov_b32_e32 v190, v189                                   // 000000005A60: 7F7C03BD
	v_mov_b32_e32 v191, v189                                   // 000000005A64: 7F7E03BD
	v_mov_b32_e32 v189, v188                                   // 000000005A68: 7F7A03BC
	v_pk_mul_f32 v[4:5], v[188:189], v[52:53]                  // 000000005A6C: D3B14004 180269BC
	v_pk_mul_f32 v[6:7], v[188:189], v[54:55]                  // 000000005A74: D3B14006 18026DBC
	v_pk_mul_f32 v[8:9], v[188:189], v[56:57]                  // 000000005A7C: D3B14008 180271BC
	v_pk_mul_f32 v[10:11], v[188:189], v[58:59]                // 000000005A84: D3B1400A 180275BC
	v_pk_mul_f32 v[12:13], v[188:189], v[60:61]                // 000000005A8C: D3B1400C 180279BC
	v_pk_mul_f32 v[14:15], v[188:189], v[62:63]                // 000000005A94: D3B1400E 18027DBC
	v_pk_mul_f32 v[16:17], v[188:189], v[64:65]                // 000000005A9C: D3B14010 180281BC
	v_pk_mul_f32 v[18:19], v[188:189], v[66:67]                // 000000005AA4: D3B14012 180285BC
	v_pk_mul_f32 v[20:21], v[190:191], v[68:69]                // 000000005AAC: D3B14014 180289BE
	v_pk_mul_f32 v[22:23], v[190:191], v[70:71]                // 000000005AB4: D3B14016 18028DBE
	v_pk_mul_f32 v[24:25], v[190:191], v[72:73]                // 000000005ABC: D3B14018 180291BE
	v_pk_mul_f32 v[26:27], v[190:191], v[74:75]                // 000000005AC4: D3B1401A 180295BE
	v_pk_mul_f32 v[28:29], v[190:191], v[76:77]                // 000000005ACC: D3B1401C 180299BE
	v_pk_mul_f32 v[30:31], v[190:191], v[78:79]                // 000000005AD4: D3B1401E 18029DBE
	v_pk_mul_f32 v[32:33], v[190:191], v[80:81]                // 000000005ADC: D3B14020 1802A1BE
	v_pk_mul_f32 v[34:35], v[190:191], v[82:83]                // 000000005AE4: D3B14022 1802A5BE
	v_pk_mul_f32 v[36:37], v[192:193], v[84:85]                // 000000005AEC: D3B14024 1802A9C0
	v_pk_mul_f32 v[38:39], v[192:193], v[86:87]                // 000000005AF4: D3B14026 1802ADC0
	v_pk_mul_f32 v[40:41], v[192:193], v[88:89]                // 000000005AFC: D3B14028 1802B1C0
	v_pk_mul_f32 v[42:43], v[192:193], v[90:91]                // 000000005B04: D3B1402A 1802B5C0
	v_cvt_pk_fp8_f32 v4, v4, v5                                // 000000005B0C: D2A20004 00020B04
	v_cvt_pk_fp8_f32 v4, v6, v7 op_sel:[0,0,1]                 // 000000005B14: D2A24004 00020F06
	v_cvt_pk_fp8_f32 v5, v8, v9                                // 000000005B1C: D2A20005 00021308
	v_cvt_pk_fp8_f32 v5, v10, v11 op_sel:[0,0,1]               // 000000005B24: D2A24005 0002170A
	v_cvt_pk_fp8_f32 v6, v12, v13                              // 000000005B2C: D2A20006 00021B0C
	v_cvt_pk_fp8_f32 v6, v14, v15 op_sel:[0,0,1]               // 000000005B34: D2A24006 00021F0E
	v_cvt_pk_fp8_f32 v7, v16, v17                              // 000000005B3C: D2A20007 00022310
	v_cvt_pk_fp8_f32 v7, v18, v19 op_sel:[0,0,1]               // 000000005B44: D2A24007 00022712
	v_cvt_pk_fp8_f32 v8, v20, v21                              // 000000005B4C: D2A20008 00022B14
	v_cvt_pk_fp8_f32 v8, v22, v23 op_sel:[0,0,1]               // 000000005B54: D2A24008 00022F16
	v_cvt_pk_fp8_f32 v9, v24, v25                              // 000000005B5C: D2A20009 00023318
	v_cvt_pk_fp8_f32 v9, v26, v27 op_sel:[0,0,1]               // 000000005B64: D2A24009 0002371A
	v_cvt_pk_fp8_f32 v10, v28, v29                             // 000000005B6C: D2A2000A 00023B1C
	v_cvt_pk_fp8_f32 v10, v30, v31 op_sel:[0,0,1]              // 000000005B74: D2A2400A 00023F1E
	v_cvt_pk_fp8_f32 v11, v32, v33                             // 000000005B7C: D2A2000B 00024320
	v_cvt_pk_fp8_f32 v11, v34, v35 op_sel:[0,0,1]              // 000000005B84: D2A2400B 00024722
	v_cvt_pk_fp8_f32 v12, v36, v37                             // 000000005B8C: D2A2000C 00024B24
	v_cvt_pk_fp8_f32 v12, v38, v39 op_sel:[0,0,1]              // 000000005B94: D2A2400C 00024F26
	v_cvt_pk_fp8_f32 v13, v40, v41                             // 000000005B9C: D2A2000D 00025328
	v_cvt_pk_fp8_f32 v13, v42, v43 op_sel:[0,0,1]              // 000000005BA4: D2A2400D 0002572A
	v_mov_b32_dpp v14, v12 row_shl:8 row_mask:0xf bank_mask:0xf bound_ctrl:1// 000000005BAC: 7E1C02FA FF09080C
	v_and_b32_e32 v12, v12, v224                               // 000000005BB4: 2619C10C
	v_mov_b32_dpp v15, v13 row_shl:8 row_mask:0xf bank_mask:0xf bound_ctrl:1// 000000005BB8: 7E1E02FA FF09080D
	v_and_b32_e32 v13, v13, v224                               // 000000005BC0: 261BC10D
	ds_write_b32 v248, v4 offset:8192                          // 000000005BC4: D81A2000 000004F8
	ds_write_b32 v248, v5 offset:9216                          // 000000005BCC: D81A2400 000005F8
	ds_write_b32 v248, v6 offset:10240                         // 000000005BD4: D81A2800 000006F8
	ds_write_b32 v248, v7 offset:11264                         // 000000005BDC: D81A2C00 000007F8
	ds_write_b32 v248, v8 offset:12288                         // 000000005BE4: D81A3000 000008F8
	ds_write_b32 v248, v9 offset:13312                         // 000000005BEC: D81A3400 000009F8
	ds_write_b32 v248, v10 offset:14336                        // 000000005BF4: D81A3800 00000AF8
	ds_write_b32 v248, v11 offset:15360                        // 000000005BFC: D81A3C00 00000BF8
	ds_write_b32 v248, v12 offset:16384                        // 000000005C04: D81A4000 00000CF8
	ds_write_b32 v248, v13 offset:17408                        // 000000005C0C: D81A4400 00000DF8
	ds_write_b32 v248, v14 offset:18432                        // 000000005C14: D81A4800 00000EF8
	ds_write_b32 v248, v15 offset:19456                        // 000000005C1C: D81A4C00 00000FF8
	v_rcp_f32_e32 v158, v188                                   // 000000005C24: 7F3C45BC
	v_rcp_f32_e32 v160, v190                                   // 000000005C28: 7F4045BE
	v_rcp_f32_e32 v162, v192                                   // 000000005C2C: 7F4445C0
	v_mov_b32_e32 v159, v158                                   // 000000005C30: 7F3E039E
	v_mov_b32_e32 v161, v160                                   // 000000005C34: 7F4203A0
	v_mov_b32_e32 v163, v162                                   // 000000005C38: 7F4603A2
	v_pk_add_f32 v[124:125], v[124:125], v[100:101]            // 000000005C3C: D3B2407C 1802C97C
	v_pk_add_f32 v[126:127], v[126:127], v[102:103]            // 000000005C44: D3B2407E 1802CD7E
	v_pk_add_f32 v[128:129], v[128:129], v[104:105]            // 000000005C4C: D3B24080 1802D180
	v_pk_add_f32 v[130:131], v[130:131], v[106:107]            // 000000005C54: D3B24082 1802D582
	v_pk_add_f32 v[132:133], v[132:133], v[108:109]            // 000000005C5C: D3B24084 1802D984
	v_pk_add_f32 v[134:135], v[134:135], v[110:111]            // 000000005C64: D3B24086 1802DD86
	v_pk_add_f32 v[136:137], v[136:137], v[112:113]            // 000000005C6C: D3B24088 1802E188
	v_pk_add_f32 v[138:139], v[138:139], v[114:115]            // 000000005C74: D3B2408A 1802E58A
	v_pk_add_f32 v[140:141], v[140:141], v[116:117]            // 000000005C7C: D3B2408C 1802E98C
	v_pk_add_f32 v[142:143], v[142:143], v[118:119]            // 000000005C84: D3B2408E 1802ED8E
	v_pk_add_f32 v[144:145], v[144:145], v[120:121]            // 000000005C8C: D3B24090 1802F190
	v_pk_add_f32 v[146:147], v[146:147], v[122:123]            // 000000005C94: D3B24092 1802F592
	s_waitcnt lgkmcnt(0)                                       // 000000005C9C: BF8CC07F
	s_barrier                                                  // 000000005CA0: BF8A0000
	ds_read_b128 v[4:7], v249 offset:8192                      // 000000005CA4: D9FE2000 040000F9
	ds_read_b128 v[8:11], v249 offset:9216                     // 000000005CAC: D9FE2400 080000F9
	ds_read_b128 v[12:15], v249 offset:10240                   // 000000005CB4: D9FE2800 0C0000F9
	ds_read_b128 v[16:19], v249 offset:11264                   // 000000005CBC: D9FE2C00 100000F9
	ds_read_b128 v[20:23], v249 offset:12288                   // 000000005CC4: D9FE3000 140000F9
	ds_read_b128 v[24:27], v249 offset:13312                   // 000000005CCC: D9FE3400 180000F9
	ds_read_b128 v[28:31], v249 offset:14336                   // 000000005CD4: D9FE3800 1C0000F9
	ds_read_b128 v[32:35], v249 offset:15360                   // 000000005CDC: D9FE3C00 200000F9
	ds_read_b128 v[36:39], v249 offset:16384                   // 000000005CE4: D9FE4000 240000F9
	ds_read_b128 v[40:43], v249 offset:17408                   // 000000005CEC: D9FE4400 280000F9
	ds_read_b128 v[44:47], v249 offset:18432                   // 000000005CF4: D9FE4800 2C0000F9
	ds_read_b128 v[48:51], v249 offset:19456                   // 000000005CFC: D9FE4C00 300000F9
	s_waitcnt vmcnt(10)                                        // 000000005D04: BF8C0F7A
	s_waitcnt lgkmcnt(11)                                      // 000000005D08: BF8CCB7F
	v_mfma_f32_16x16x32_fp8_fp8 v[100:103], a[88:89], v[4:5], 0// 000000005D0C: D3F30064 0A020958
	v_mfma_f32_16x16x32_fp8_fp8 v[104:107], a[104:105], v[4:5], 0// 000000005D14: D3F30068 0A020968
	v_mfma_f32_16x16x32_fp8_fp8 v[100:103], a[90:91], v[6:7], v[100:103]// 000000005D1C: D3F30064 0D920D5A
	buffer_load_dwordx4 a[120:123], v234, s[16:19], 0 offen    // 000000005D24: E05C1000 808478EA
	v_mfma_f32_16x16x32_fp8_fp8 v[104:107], a[106:107], v[6:7], v[104:107]// 000000005D2C: D3F30068 0DA20D6A
	s_waitcnt lgkmcnt(10)                                      // 000000005D34: BF8CCA7F
	v_mfma_f32_16x16x32_fp8_fp8 v[100:103], a[92:93], v[8:9], v[100:103]// 000000005D38: D3F30064 0D92115C
	v_mfma_f32_16x16x32_fp8_fp8 v[104:107], a[108:109], v[8:9], v[104:107]// 000000005D40: D3F30068 0DA2116C
	v_mfma_f32_16x16x32_fp8_fp8 v[100:103], a[94:95], v[10:11], v[100:103]// 000000005D48: D3F30064 0D92155E
	buffer_load_dwordx4 a[124:127], v235, s[16:19], 0 offen    // 000000005D50: E05C1000 80847CEB
	v_mfma_f32_16x16x32_fp8_fp8 v[104:107], a[110:111], v[10:11], v[104:107]// 000000005D58: D3F30068 0DA2156E
	s_waitcnt lgkmcnt(9)                                       // 000000005D60: BF8CC97F
	v_mfma_f32_16x16x32_fp8_fp8 v[100:103], a[96:97], v[12:13], v[100:103]// 000000005D64: D3F30064 0D921960
	v_mfma_f32_16x16x32_fp8_fp8 v[104:107], a[112:113], v[12:13], v[104:107]// 000000005D6C: D3F30068 0DA21970
	v_mfma_f32_16x16x32_fp8_fp8 v[100:103], a[98:99], v[14:15], v[100:103]// 000000005D74: D3F30064 0D921D62
	buffer_load_dwordx4 a[128:131], v236, s[16:19], 0 offen    // 000000005D7C: E05C1000 808480EC
	v_mfma_f32_16x16x32_fp8_fp8 v[104:107], a[114:115], v[14:15], v[104:107]// 000000005D84: D3F30068 0DA21D72
	s_waitcnt lgkmcnt(8)                                       // 000000005D8C: BF8CC87F
	v_mfma_f32_16x16x32_fp8_fp8 v[100:103], a[100:101], v[16:17], v[100:103]// 000000005D90: D3F30064 0D922164
	v_mfma_f32_16x16x32_fp8_fp8 v[104:107], a[116:117], v[16:17], v[104:107]// 000000005D98: D3F30068 0DA22174
	v_mfma_f32_16x16x32_fp8_fp8 v[100:103], a[102:103], v[18:19], v[100:103]// 000000005DA0: D3F30064 0D922566
	buffer_load_dwordx4 a[132:135], v237, s[16:19], 0 offen    // 000000005DA8: E05C1000 808484ED
	v_mfma_f32_16x16x32_fp8_fp8 v[104:107], a[118:119], v[18:19], v[104:107]// 000000005DB0: D3F30068 0DA22576
	s_waitcnt lgkmcnt(7)                                       // 000000005DB8: BF8CC77F
	v_mfma_f32_16x16x32_fp8_fp8 v[108:111], a[88:89], v[20:21], 0// 000000005DBC: D3F3006C 0A022958
	v_mfma_f32_16x16x32_fp8_fp8 v[112:115], a[104:105], v[20:21], 0// 000000005DC4: D3F30070 0A022968
	v_mfma_f32_16x16x32_fp8_fp8 v[108:111], a[90:91], v[22:23], v[108:111]// 000000005DCC: D3F3006C 0DB22D5A
	buffer_load_dwordx4 a[136:139], v234, s[16:19], 0 offen offset:1024// 000000005DD4: E05C1400 808488EA
	v_mfma_f32_16x16x32_fp8_fp8 v[112:115], a[106:107], v[22:23], v[112:115]// 000000005DDC: D3F30070 0DC22D6A
	s_waitcnt lgkmcnt(6)                                       // 000000005DE4: BF8CC67F
	v_mfma_f32_16x16x32_fp8_fp8 v[108:111], a[92:93], v[24:25], v[108:111]// 000000005DE8: D3F3006C 0DB2315C
	v_mfma_f32_16x16x32_fp8_fp8 v[112:115], a[108:109], v[24:25], v[112:115]// 000000005DF0: D3F30070 0DC2316C
	v_mfma_f32_16x16x32_fp8_fp8 v[108:111], a[94:95], v[26:27], v[108:111]// 000000005DF8: D3F3006C 0DB2355E
	buffer_load_dwordx4 a[140:143], v235, s[16:19], 0 offen offset:1024// 000000005E00: E05C1400 80848CEB
	v_mfma_f32_16x16x32_fp8_fp8 v[112:115], a[110:111], v[26:27], v[112:115]// 000000005E08: D3F30070 0DC2356E
	s_waitcnt lgkmcnt(5)                                       // 000000005E10: BF8CC57F
	v_mfma_f32_16x16x32_fp8_fp8 v[108:111], a[96:97], v[28:29], v[108:111]// 000000005E14: D3F3006C 0DB23960
	v_mfma_f32_16x16x32_fp8_fp8 v[112:115], a[112:113], v[28:29], v[112:115]// 000000005E1C: D3F30070 0DC23970
	v_mfma_f32_16x16x32_fp8_fp8 v[108:111], a[98:99], v[30:31], v[108:111]// 000000005E24: D3F3006C 0DB23D62
	buffer_load_dwordx4 a[144:147], v236, s[16:19], 0 offen offset:1024// 000000005E2C: E05C1400 808490EC
	v_mfma_f32_16x16x32_fp8_fp8 v[112:115], a[114:115], v[30:31], v[112:115]// 000000005E34: D3F30070 0DC23D72
	s_waitcnt lgkmcnt(4)                                       // 000000005E3C: BF8CC47F
	v_mfma_f32_16x16x32_fp8_fp8 v[108:111], a[100:101], v[32:33], v[108:111]// 000000005E40: D3F3006C 0DB24164
	v_mfma_f32_16x16x32_fp8_fp8 v[112:115], a[116:117], v[32:33], v[112:115]// 000000005E48: D3F30070 0DC24174
	v_mfma_f32_16x16x32_fp8_fp8 v[108:111], a[102:103], v[34:35], v[108:111]// 000000005E50: D3F3006C 0DB24566
	buffer_load_dwordx4 a[148:151], v237, s[16:19], 0 offen offset:1024// 000000005E58: E05C1400 808494ED
	v_mfma_f32_16x16x32_fp8_fp8 v[112:115], a[118:119], v[34:35], v[112:115]// 000000005E60: D3F30070 0DC24576
	s_waitcnt lgkmcnt(3)                                       // 000000005E68: BF8CC37F
	v_mfma_f32_16x16x32_fp8_fp8 v[116:119], a[88:89], v[36:37], 0// 000000005E6C: D3F30074 0A024958
	v_mfma_f32_16x16x32_fp8_fp8 v[120:123], a[104:105], v[36:37], 0// 000000005E74: D3F30078 0A024968
	v_mfma_f32_16x16x32_fp8_fp8 v[116:119], a[90:91], v[38:39], v[116:119]// 000000005E7C: D3F30074 0DD24D5A
	v_mfma_f32_16x16x32_fp8_fp8 v[120:123], a[106:107], v[38:39], v[120:123]// 000000005E84: D3F30078 0DE24D6A
	s_waitcnt lgkmcnt(2)                                       // 000000005E8C: BF8CC27F
	v_mfma_f32_16x16x32_fp8_fp8 v[116:119], a[92:93], v[40:41], v[116:119]// 000000005E90: D3F30074 0DD2515C
	v_mfma_f32_16x16x32_fp8_fp8 v[120:123], a[108:109], v[40:41], v[120:123]// 000000005E98: D3F30078 0DE2516C
	v_mfma_f32_16x16x32_fp8_fp8 v[116:119], a[94:95], v[42:43], v[116:119]// 000000005EA0: D3F30074 0DD2555E
	v_mfma_f32_16x16x32_fp8_fp8 v[120:123], a[110:111], v[42:43], v[120:123]// 000000005EA8: D3F30078 0DE2556E
	s_waitcnt lgkmcnt(1)                                       // 000000005EB0: BF8CC17F
	v_mfma_f32_16x16x32_fp8_fp8 v[116:119], a[96:97], v[44:45], v[116:119]// 000000005EB4: D3F30074 0DD25960
	v_mfma_f32_16x16x32_fp8_fp8 v[120:123], a[112:113], v[44:45], v[120:123]// 000000005EBC: D3F30078 0DE25970
	v_mfma_f32_16x16x32_fp8_fp8 v[116:119], a[98:99], v[46:47], v[116:119]// 000000005EC4: D3F30074 0DD25D62
	v_mfma_f32_16x16x32_fp8_fp8 v[120:123], a[114:115], v[46:47], v[120:123]// 000000005ECC: D3F30078 0DE25D72
	s_waitcnt lgkmcnt(0)                                       // 000000005ED4: BF8CC07F
	v_mfma_f32_16x16x32_fp8_fp8 v[116:119], a[100:101], v[48:49], v[116:119]// 000000005ED8: D3F30074 0DD26164
	v_mfma_f32_16x16x32_fp8_fp8 v[120:123], a[116:117], v[48:49], v[120:123]// 000000005EE0: D3F30078 0DE26174
	v_mfma_f32_16x16x32_fp8_fp8 v[116:119], a[102:103], v[50:51], v[116:119]// 000000005EE8: D3F30074 0DD26566
	v_mfma_f32_16x16x32_fp8_fp8 v[120:123], a[118:119], v[50:51], v[120:123]// 000000005EF0: D3F30078 0DE26576
	s_addk_i32 s49, 0x100                                      // 000000005EF8: B7310100
	s_cmp_lt_i32 s49, s50                                      // 000000005EFC: BF043231
	s_cbranch_scc0 label_34C5                                  // 000000005F00: BF842544
	s_waitcnt vmcnt(10)                                        // 000000005F04: BF8C0F7A
	v_mfma_f32_16x16x32_fp8_fp8 v[4:7], a[56:57], a[0:1], 0    // 000000005F08: D3F30004 1A020138
	s_add_u32 s12, s76, s64                                    // 000000005F10: 800C404C
	s_addc_u32 s13, s77, 0                                     // 000000005F14: 820D804D
	v_mfma_f32_16x16x32_fp8_fp8 v[4:7], a[58:59], a[2:3], v[4:7]// 000000005F18: D3F30004 1C12053A
	s_add_u32 s16, s78, s65                                    // 000000005F20: 8010414E
	s_addc_u32 s17, s79, 0                                     // 000000005F24: 8211804F
	v_mfma_f32_16x16x32_fp8_fp8 v[4:7], a[60:61], a[4:5], v[4:7]// 000000005F28: D3F30004 1C12093C
	buffer_load_dwordx4 a[24:27], v232, s[12:15], 0 offen      // 000000005F30: E05C1000 808318E8
	v_mfma_f32_16x16x32_fp8_fp8 v[4:7], a[62:63], a[6:7], v[4:7]// 000000005F38: D3F30004 1C120D3E
	s_add_u32 s28, s80, s66                                    // 000000005F40: 801C4250
	s_addc_u32 s29, s81, 0                                     // 000000005F44: 821D8051
	v_mfma_f32_16x16x32_fp8_fp8 v[8:11], a[64:65], a[0:1], 0   // 000000005F48: D3F30008 1A020140
	s_add_u32 s32, s82, s66                                    // 000000005F50: 80204252
	s_addc_u32 s33, s83, 0                                     // 000000005F54: 82218053
	v_mfma_f32_16x16x32_fp8_fp8 v[8:11], a[66:67], a[2:3], v[8:11]// 000000005F58: D3F30008 1C220542
	s_add_u32 s64, s64, 0x1000                                 // 000000005F60: 8040FF40 00001000
	s_add_u32 s65, s65, 0x8000                                 // 000000005F68: 8041FF41 00008000
	v_mfma_f32_16x16x32_fp8_fp8 v[8:11], a[68:69], a[4:5], v[8:11]// 000000005F70: D3F30008 1C220944
	buffer_load_dwordx4 a[28:31], v233, s[12:15], 0 offen      // 000000005F78: E05C1000 80831CE9
	v_mfma_f32_16x16x32_fp8_fp8 v[8:11], a[70:71], a[6:7], v[8:11]// 000000005F80: D3F30008 1C220D46
	s_add_u32 s66, s66, 0x400                                  // 000000005F88: 8042FF42 00000400
	v_mfma_f32_16x16x32_fp8_fp8 v[12:15], a[72:73], a[0:1], 0  // 000000005F90: D3F3000C 1A020148
	v_mfma_f32_16x16x32_fp8_fp8 v[12:15], a[74:75], a[2:3], v[12:15]// 000000005F98: D3F3000C 1C32054A
	v_mfma_f32_16x16x32_fp8_fp8 v[12:15], a[76:77], a[4:5], v[12:15]// 000000005FA0: D3F3000C 1C32094C
	buffer_load_dwordx4 a[32:35], v232, s[12:15], 0 offen offset:1024// 000000005FA8: E05C1400 808320E8
	v_mfma_f32_16x16x32_fp8_fp8 v[12:15], a[78:79], a[6:7], v[12:15]// 000000005FB0: D3F3000C 1C320D4E
	v_mfma_f32_16x16x32_fp8_fp8 v[16:19], a[80:81], a[0:1], 0  // 000000005FB8: D3F30010 1A020150
	v_mfma_f32_16x16x32_fp8_fp8 v[16:19], a[82:83], a[2:3], v[16:19]// 000000005FC0: D3F30010 1C420552
	v_mfma_f32_16x16x32_fp8_fp8 v[16:19], a[84:85], a[4:5], v[16:19]// 000000005FC8: D3F30010 1C420954
	buffer_load_dwordx4 a[36:39], v233, s[12:15], 0 offen offset:1024// 000000005FD0: E05C1400 808324E9
	v_mfma_f32_16x16x32_fp8_fp8 v[16:19], a[86:87], a[6:7], v[16:19]// 000000005FD8: D3F30010 1C420D56
	v_mfma_f32_16x16x32_fp8_fp8 v[20:23], a[56:57], a[8:9], 0  // 000000005FE0: D3F30014 1A021138
	v_mfma_f32_16x16x32_fp8_fp8 v[20:23], a[58:59], a[10:11], v[20:23]// 000000005FE8: D3F30014 1C52153A
	v_mfma_f32_16x16x32_fp8_fp8 v[20:23], a[60:61], a[12:13], v[20:23]// 000000005FF0: D3F30014 1C52193C
	buffer_load_dwordx4 a[40:43], v232, s[12:15], 0 offen offset:2048// 000000005FF8: E05C1800 808328E8
	v_mfma_f32_16x16x32_fp8_fp8 v[20:23], a[62:63], a[14:15], v[20:23]// 000000006000: D3F30014 1C521D3E
	v_mfma_f32_16x16x32_fp8_fp8 v[24:27], a[64:65], a[8:9], 0  // 000000006008: D3F30018 1A021140
	v_mfma_f32_16x16x32_fp8_fp8 v[24:27], a[66:67], a[10:11], v[24:27]// 000000006010: D3F30018 1C621542
	v_mfma_f32_16x16x32_fp8_fp8 v[24:27], a[68:69], a[12:13], v[24:27]// 000000006018: D3F30018 1C621944
	buffer_load_dwordx4 a[44:47], v233, s[12:15], 0 offen offset:2048// 000000006020: E05C1800 80832CE9
	v_mfma_f32_16x16x32_fp8_fp8 v[24:27], a[70:71], a[14:15], v[24:27]// 000000006028: D3F30018 1C621D46
	v_mfma_f32_16x16x32_fp8_fp8 v[28:31], a[72:73], a[8:9], 0  // 000000006030: D3F3001C 1A021148
	v_mfma_f32_16x16x32_fp8_fp8 v[28:31], a[74:75], a[10:11], v[28:31]// 000000006038: D3F3001C 1C72154A
	v_mfma_f32_16x16x32_fp8_fp8 v[28:31], a[76:77], a[12:13], v[28:31]// 000000006040: D3F3001C 1C72194C
	buffer_load_dwordx4 a[48:51], v232, s[12:15], 0 offen offset:3072// 000000006048: E05C1C00 808330E8
	v_mfma_f32_16x16x32_fp8_fp8 v[28:31], a[78:79], a[14:15], v[28:31]// 000000006050: D3F3001C 1C721D4E
	v_mfma_f32_16x16x32_fp8_fp8 v[32:35], a[80:81], a[8:9], 0  // 000000006058: D3F30020 1A021150
	v_mfma_f32_16x16x32_fp8_fp8 v[32:35], a[82:83], a[10:11], v[32:35]// 000000006060: D3F30020 1C821552
	v_mfma_f32_16x16x32_fp8_fp8 v[32:35], a[84:85], a[12:13], v[32:35]// 000000006068: D3F30020 1C821954
	buffer_load_dwordx4 a[52:55], v233, s[12:15], 0 offen offset:3072// 000000006070: E05C1C00 808334E9
	v_mfma_f32_16x16x32_fp8_fp8 v[32:35], a[86:87], a[14:15], v[32:35]// 000000006078: D3F30020 1C821D56
	v_mfma_f32_16x16x32_fp8_fp8 v[36:39], a[56:57], a[16:17], 0// 000000006080: D3F30024 1A022138
	v_mfma_f32_16x16x32_fp8_fp8 v[36:39], a[58:59], a[18:19], v[36:39]// 000000006088: D3F30024 1C92253A
	v_mfma_f32_16x16x32_fp8_fp8 v[36:39], a[60:61], a[20:21], v[36:39]// 000000006090: D3F30024 1C92293C
	v_mfma_f32_16x16x32_fp8_fp8 v[36:39], a[62:63], a[22:23], v[36:39]// 000000006098: D3F30024 1C922D3E
	v_mfma_f32_16x16x32_fp8_fp8 v[40:43], a[64:65], a[16:17], 0// 0000000060A0: D3F30028 1A022140
	v_mfma_f32_16x16x32_fp8_fp8 v[40:43], a[66:67], a[18:19], v[40:43]// 0000000060A8: D3F30028 1CA22542
	v_mfma_f32_16x16x32_fp8_fp8 v[40:43], a[68:69], a[20:21], v[40:43]// 0000000060B0: D3F30028 1CA22944
	v_mfma_f32_16x16x32_fp8_fp8 v[40:43], a[70:71], a[22:23], v[40:43]// 0000000060B8: D3F30028 1CA22D46
	v_mfma_f32_16x16x32_fp8_fp8 v[44:47], a[72:73], a[16:17], 0// 0000000060C0: D3F3002C 1A022148
	v_mfma_f32_16x16x32_fp8_fp8 v[44:47], a[74:75], a[18:19], v[44:47]// 0000000060C8: D3F3002C 1CB2254A
	v_mfma_f32_16x16x32_fp8_fp8 v[44:47], a[76:77], a[20:21], v[44:47]// 0000000060D0: D3F3002C 1CB2294C
	v_mfma_f32_16x16x32_fp8_fp8 v[44:47], a[78:79], a[22:23], v[44:47]// 0000000060D8: D3F3002C 1CB22D4E
	v_mfma_f32_16x16x32_fp8_fp8 v[48:51], a[80:81], a[16:17], 0// 0000000060E0: D3F30030 1A022150
	v_mfma_f32_16x16x32_fp8_fp8 v[48:51], a[82:83], a[18:19], v[48:51]// 0000000060E8: D3F30030 1CC22552
	v_mfma_f32_16x16x32_fp8_fp8 v[48:51], a[84:85], a[20:21], v[48:51]// 0000000060F0: D3F30030 1CC22954
	v_mfma_f32_16x16x32_fp8_fp8 v[48:51], a[86:87], a[22:23], v[48:51]// 0000000060F8: D3F30030 1CC22D56
	s_waitcnt vmcnt(16)                                        // 000000006100: BF8C4F70
	v_or_b32_dpp v36, v44, v36 row_shr:8 row_mask:0xf bank_mask:0xf bound_ctrl:1// 000000006104: 284848FA FF09182C
	v_or_b32_dpp v37, v45, v37 row_shr:8 row_mask:0xf bank_mask:0xf bound_ctrl:1// 00000000610C: 284A4AFA FF09182D
	v_or_b32_dpp v38, v46, v38 row_shr:8 row_mask:0xf bank_mask:0xf bound_ctrl:1// 000000006114: 284C4CFA FF09182E
	v_or_b32_dpp v39, v47, v39 row_shr:8 row_mask:0xf bank_mask:0xf bound_ctrl:1// 00000000611C: 284E4EFA FF09182F
	v_or_b32_dpp v40, v48, v40 row_shr:8 row_mask:0xf bank_mask:0xf bound_ctrl:1// 000000006124: 285050FA FF091830
	v_or_b32_dpp v41, v49, v41 row_shr:8 row_mask:0xf bank_mask:0xf bound_ctrl:1// 00000000612C: 285252FA FF091831
	v_or_b32_dpp v42, v50, v42 row_shr:8 row_mask:0xf bank_mask:0xf bound_ctrl:1// 000000006134: 285454FA FF091832
	v_or_b32_dpp v43, v51, v43 row_shr:8 row_mask:0xf bank_mask:0xf bound_ctrl:1// 00000000613C: 285656FA FF091833
	v_mov_b32_dpp v168, v155 row_shr:4 row_mask:0xf bank_mask:0xf// 000000006144: 7F5002FA FF01149B
	v_mov_b32_dpp v169, v155 row_shl:4 row_mask:0xf bank_mask:0xf// 00000000614C: 7F5202FA FF01049B
	v_cndmask_b32_e64 v164, v155, v168, s[90:91]               // 000000006154: D10000A4 016B519B
	v_cndmask_b32_e64 v165, v169, v155, s[90:91]               // 00000000615C: D10000A5 016B37A9
	v_mov_b32_dpp v168, v157 row_shr:4 row_mask:0xf bank_mask:0xf// 000000006164: 7F5002FA FF01149D
	v_mov_b32_dpp v169, v157 row_shl:4 row_mask:0xf bank_mask:0xf// 00000000616C: 7F5202FA FF01049D
	v_cndmask_b32_e64 v166, v157, v168, s[90:91]               // 000000006174: D10000A6 016B519D
	v_cndmask_b32_e64 v167, v169, v157, s[90:91]               // 00000000617C: D10000A7 016B3BA9
	v_pk_mul_f32 v[4:5], v[148:149], v[4:5]                    // 000000006184: D3B14004 18020994
	v_pk_mul_f32 v[6:7], v[148:149], v[6:7]                    // 00000000618C: D3B14006 18020D94
	v_pk_mul_f32 v[8:9], v[148:149], v[8:9]                    // 000000006194: D3B14008 18021194
	v_pk_mul_f32 v[10:11], v[148:149], v[10:11]                // 00000000619C: D3B1400A 18021594
	v_pk_mul_f32 v[12:13], v[148:149], v[12:13]                // 0000000061A4: D3B1400C 18021994
	v_pk_mul_f32 v[14:15], v[148:149], v[14:15]                // 0000000061AC: D3B1400E 18021D94
	v_pk_mul_f32 v[16:17], v[148:149], v[16:17]                // 0000000061B4: D3B14010 18022194
	v_pk_mul_f32 v[18:19], v[148:149], v[18:19]                // 0000000061BC: D3B14012 18022594
	v_mul_f32_dpp v4, v155, v4 row_newbcast:0 row_mask:0xf bank_mask:0xf// 0000000061C4: 0A0808FA FF01509B
	v_mul_f32_dpp v5, v155, v5 row_newbcast:1 row_mask:0xf bank_mask:0xf// 0000000061CC: 0A0A0AFA FF01519B
	v_mul_f32_dpp v6, v155, v6 row_newbcast:2 row_mask:0xf bank_mask:0xf// 0000000061D4: 0A0C0CFA FF01529B
	v_mul_f32_dpp v7, v155, v7 row_newbcast:3 row_mask:0xf bank_mask:0xf// 0000000061DC: 0A0E0EFA FF01539B
	v_mul_f32_dpp v8, v155, v8 row_newbcast:4 row_mask:0xf bank_mask:0xf// 0000000061E4: 0A1010FA FF01549B
	v_mul_f32_dpp v9, v155, v9 row_newbcast:5 row_mask:0xf bank_mask:0xf// 0000000061EC: 0A1212FA FF01559B
	v_mul_f32_dpp v10, v155, v10 row_newbcast:6 row_mask:0xf bank_mask:0xf// 0000000061F4: 0A1414FA FF01569B
	v_mul_f32_dpp v11, v155, v11 row_newbcast:7 row_mask:0xf bank_mask:0xf// 0000000061FC: 0A1616FA FF01579B
	v_mul_f32_dpp v12, v155, v12 row_newbcast:8 row_mask:0xf bank_mask:0xf// 000000006204: 0A1818FA FF01589B
	v_mul_f32_dpp v13, v155, v13 row_newbcast:9 row_mask:0xf bank_mask:0xf// 00000000620C: 0A1A1AFA FF01599B
	v_mul_f32_dpp v14, v155, v14 row_newbcast:10 row_mask:0xf bank_mask:0xf// 000000006214: 0A1C1CFA FF015A9B
	v_mul_f32_dpp v15, v155, v15 row_newbcast:11 row_mask:0xf bank_mask:0xf// 00000000621C: 0A1E1EFA FF015B9B
	v_mul_f32_dpp v16, v155, v16 row_newbcast:12 row_mask:0xf bank_mask:0xf// 000000006224: 0A2020FA FF015C9B
	v_mul_f32_dpp v17, v155, v17 row_newbcast:13 row_mask:0xf bank_mask:0xf// 00000000622C: 0A2222FA FF015D9B
	v_mul_f32_dpp v18, v155, v18 row_newbcast:14 row_mask:0xf bank_mask:0xf// 000000006234: 0A2424FA FF015E9B
	v_mul_f32_dpp v19, v155, v19 row_newbcast:15 row_mask:0xf bank_mask:0xf// 00000000623C: 0A2626FA FF015F9B
	v_pk_mul_f32 v[20:21], v[150:151], v[20:21]                // 000000006244: D3B14014 18022996
	v_pk_mul_f32 v[22:23], v[150:151], v[22:23]                // 00000000624C: D3B14016 18022D96
	v_pk_mul_f32 v[24:25], v[150:151], v[24:25]                // 000000006254: D3B14018 18023196
	v_pk_mul_f32 v[26:27], v[150:151], v[26:27]                // 00000000625C: D3B1401A 18023596
	v_pk_mul_f32 v[28:29], v[150:151], v[28:29]                // 000000006264: D3B1401C 18023996
	v_pk_mul_f32 v[30:31], v[150:151], v[30:31]                // 00000000626C: D3B1401E 18023D96
	v_pk_mul_f32 v[32:33], v[150:151], v[32:33]                // 000000006274: D3B14020 18024196
	v_pk_mul_f32 v[34:35], v[150:151], v[34:35]                // 00000000627C: D3B14022 18024596
	v_mul_f32_dpp v20, v155, v20 row_newbcast:0 row_mask:0xf bank_mask:0xf// 000000006284: 0A2828FA FF01509B
	v_mul_f32_dpp v21, v155, v21 row_newbcast:1 row_mask:0xf bank_mask:0xf// 00000000628C: 0A2A2AFA FF01519B
	v_mul_f32_dpp v22, v155, v22 row_newbcast:2 row_mask:0xf bank_mask:0xf// 000000006294: 0A2C2CFA FF01529B
	v_mul_f32_dpp v23, v155, v23 row_newbcast:3 row_mask:0xf bank_mask:0xf// 00000000629C: 0A2E2EFA FF01539B
	v_mul_f32_dpp v24, v155, v24 row_newbcast:4 row_mask:0xf bank_mask:0xf// 0000000062A4: 0A3030FA FF01549B
	v_mul_f32_dpp v25, v155, v25 row_newbcast:5 row_mask:0xf bank_mask:0xf// 0000000062AC: 0A3232FA FF01559B
	v_mul_f32_dpp v26, v155, v26 row_newbcast:6 row_mask:0xf bank_mask:0xf// 0000000062B4: 0A3434FA FF01569B
	v_mul_f32_dpp v27, v155, v27 row_newbcast:7 row_mask:0xf bank_mask:0xf// 0000000062BC: 0A3636FA FF01579B
	v_mul_f32_dpp v28, v155, v28 row_newbcast:8 row_mask:0xf bank_mask:0xf// 0000000062C4: 0A3838FA FF01589B
	v_mul_f32_dpp v29, v155, v29 row_newbcast:9 row_mask:0xf bank_mask:0xf// 0000000062CC: 0A3A3AFA FF01599B
	v_mul_f32_dpp v30, v155, v30 row_newbcast:10 row_mask:0xf bank_mask:0xf// 0000000062D4: 0A3C3CFA FF015A9B
	v_mul_f32_dpp v31, v155, v31 row_newbcast:11 row_mask:0xf bank_mask:0xf// 0000000062DC: 0A3E3EFA FF015B9B
	v_mul_f32_dpp v32, v155, v32 row_newbcast:12 row_mask:0xf bank_mask:0xf// 0000000062E4: 0A4040FA FF015C9B
	v_mul_f32_dpp v33, v155, v33 row_newbcast:13 row_mask:0xf bank_mask:0xf// 0000000062EC: 0A4242FA FF015D9B
	v_mul_f32_dpp v34, v155, v34 row_newbcast:14 row_mask:0xf bank_mask:0xf// 0000000062F4: 0A4444FA FF015E9B
	v_mul_f32_dpp v35, v155, v35 row_newbcast:15 row_mask:0xf bank_mask:0xf// 0000000062FC: 0A4646FA FF015F9B
	v_pk_mul_f32 v[36:37], v[152:153], v[36:37]                // 000000006304: D3B14024 18024998
	v_pk_mul_f32 v[38:39], v[152:153], v[38:39]                // 00000000630C: D3B14026 18024D98
	v_pk_mul_f32 v[40:41], v[152:153], v[40:41]                // 000000006314: D3B14028 18025198
	v_pk_mul_f32 v[42:43], v[152:153], v[42:43]                // 00000000631C: D3B1402A 18025598
	v_mul_f32_dpp v36, v164, v36 quad_perm:[0,0,0,0] row_mask:0xf bank_mask:0xf// 000000006324: 0A4848FA FF0000A4
	v_mul_f32_dpp v37, v164, v37 quad_perm:[1,1,1,1] row_mask:0xf bank_mask:0xf// 00000000632C: 0A4A4AFA FF0055A4
	v_mul_f32_dpp v38, v164, v38 quad_perm:[2,2,2,2] row_mask:0xf bank_mask:0xf// 000000006334: 0A4C4CFA FF00AAA4
	v_mul_f32_dpp v39, v164, v39 quad_perm:[3,3,3,3] row_mask:0xf bank_mask:0xf// 00000000633C: 0A4E4EFA FF00FFA4
	v_mul_f32_dpp v40, v165, v40 quad_perm:[0,0,0,0] row_mask:0xf bank_mask:0xf// 000000006344: 0A5050FA FF0000A5
	v_mul_f32_dpp v41, v165, v41 quad_perm:[1,1,1,1] row_mask:0xf bank_mask:0xf// 00000000634C: 0A5252FA FF0055A5
	v_mul_f32_dpp v42, v165, v42 quad_perm:[2,2,2,2] row_mask:0xf bank_mask:0xf// 000000006354: 0A5454FA FF00AAA5
	v_mul_f32_dpp v43, v165, v43 quad_perm:[3,3,3,3] row_mask:0xf bank_mask:0xf// 00000000635C: 0A5656FA FF00FFA5
	v_mov_b32_e32 v190, v36                                    // 000000006364: 7F7C0324
	v_max3_f32 v190, v36, v37, v190                            // 000000006368: D1D300BE 06FA4B24
	v_max3_f32 v190, v38, v39, v190                            // 000000006370: D1D300BE 06FA4F26
	v_max3_f32 v190, v40, v41, v190                            // 000000006378: D1D300BE 06FA5328
	v_max3_f32 v190, v42, v43, v190                            // 000000006380: D1D300BE 06FA572A
	v_mov_b32_e32 v189, v20                                    // 000000006388: 7F7A0314
	v_max3_f32 v189, v20, v21, v189                            // 00000000638C: D1D300BD 06F62B14
	v_max3_f32 v189, v22, v23, v189                            // 000000006394: D1D300BD 06F62F16
	v_max3_f32 v189, v24, v25, v189                            // 00000000639C: D1D300BD 06F63318
	v_max3_f32 v189, v26, v27, v189                            // 0000000063A4: D1D300BD 06F6371A
	v_max3_f32 v189, v28, v29, v189                            // 0000000063AC: D1D300BD 06F63B1C
	v_max3_f32 v189, v30, v31, v189                            // 0000000063B4: D1D300BD 06F63F1E
	v_max3_f32 v189, v32, v33, v189                            // 0000000063BC: D1D300BD 06F64320
	v_max3_f32 v189, v34, v35, v189                            // 0000000063C4: D1D300BD 06F64722
	v_mov_b32_e32 v188, v4                                     // 0000000063CC: 7F780304
	v_max3_f32 v188, v4, v5, v188                              // 0000000063D0: D1D300BC 06F20B04
	v_max3_f32 v188, v6, v7, v188                              // 0000000063D8: D1D300BC 06F20F06
	v_max3_f32 v188, v8, v9, v188                              // 0000000063E0: D1D300BC 06F21308
	v_max3_f32 v188, v10, v11, v188                            // 0000000063E8: D1D300BC 06F2170A
	v_max3_f32 v188, v12, v13, v188                            // 0000000063F0: D1D300BC 06F21B0C
	v_max3_f32 v188, v14, v15, v188                            // 0000000063F8: D1D300BC 06F21F0E
	v_max3_f32 v188, v16, v17, v188                            // 000000006400: D1D300BC 06F22310
	v_max3_f32 v188, v18, v19, v188                            // 000000006408: D1D300BC 06F22712
	v_max_f32_dpp v190, v190, v190 row_ror:8 row_mask:0xf bank_mask:0xf// 000000006410: 177D7CFA FF0128BE
	ds_bpermute_b32 v172, v212, v188                           // 000000006418: D87E0000 AC00BCD4
	ds_bpermute_b32 v173, v213, v188                           // 000000006420: D87E0000 AD00BCD5
	ds_bpermute_b32 v174, v214, v188                           // 000000006428: D87E0000 AE00BCD6
	ds_bpermute_b32 v175, v212, v189                           // 000000006430: D87E0000 AF00BDD4
	ds_bpermute_b32 v176, v213, v189                           // 000000006438: D87E0000 B000BDD5
	ds_bpermute_b32 v177, v214, v189                           // 000000006440: D87E0000 B100BDD6
	ds_bpermute_b32 v178, v212, v190                           // 000000006448: D87E0000 B200BED4
	ds_bpermute_b32 v179, v213, v190                           // 000000006450: D87E0000 B300BED5
	ds_bpermute_b32 v180, v214, v190                           // 000000006458: D87E0000 B400BED6
	v_pk_mul_f32 v[124:125], v[200:201], v[124:125]            // 000000006460: D3B1407C 1802F9C8
	v_pk_mul_f32 v[126:127], v[200:201], v[126:127]            // 000000006468: D3B1407E 1802FDC8
	v_pk_mul_f32 v[128:129], v[200:201], v[128:129]            // 000000006470: D3B14080 180301C8
	v_pk_mul_f32 v[130:131], v[200:201], v[130:131]            // 000000006478: D3B14082 180305C8
	v_pk_mul_f32 v[132:133], v[202:203], v[132:133]            // 000000006480: D3B14084 180309CA
	v_pk_mul_f32 v[134:135], v[202:203], v[134:135]            // 000000006488: D3B14086 18030DCA
	v_pk_mul_f32 v[136:137], v[202:203], v[136:137]            // 000000006490: D3B14088 180311CA
	v_pk_mul_f32 v[138:139], v[202:203], v[138:139]            // 000000006498: D3B1408A 180315CA
	v_pk_mul_f32 v[140:141], v[204:205], v[140:141]            // 0000000064A0: D3B1408C 180319CC
	v_pk_mul_f32 v[142:143], v[204:205], v[142:143]            // 0000000064A8: D3B1408E 18031DCC
	v_pk_mul_f32 v[144:145], v[204:205], v[144:145]            // 0000000064B0: D3B14090 180321CC
	v_pk_mul_f32 v[146:147], v[204:205], v[146:147]            // 0000000064B8: D3B14092 180325CC
	s_waitcnt lgkmcnt(6)                                       // 0000000064C0: BF8CC67F
	v_max3_f32 v188, v172, v173, v188                          // 0000000064C4: D1D300BC 06F35BAC
	v_max_f32_e32 v188, v174, v188                             // 0000000064CC: 177979AE
	s_waitcnt lgkmcnt(3)                                       // 0000000064D0: BF8CC37F
	v_max3_f32 v189, v175, v176, v189                          // 0000000064D4: D1D300BD 06F761AF
	v_max_f32_e32 v189, v177, v189                             // 0000000064DC: 177B7BB1
	s_waitcnt lgkmcnt(0)                                       // 0000000064E0: BF8CC07F
	v_max3_f32 v190, v178, v179, v190                          // 0000000064E4: D1D300BE 06FB67B2
	v_max_f32_e32 v190, v180, v190                             // 0000000064EC: 177D7DB4
	ds_write_b128 v246, v[188:191]                             // 0000000064F0: D9BE0000 0000BCF6
	s_waitcnt lgkmcnt(0)                                       // 0000000064F8: BF8CC07F
	s_barrier                                                  // 0000000064FC: BF8A0000
	ds_read_b128 v[172:175], v247                              // 000000006500: D9FE0000 AC0000F7
	ds_read_b128 v[176:179], v247 offset:256                   // 000000006508: D9FE0100 B00000F7
	ds_read_b128 v[180:183], v247 offset:512                   // 000000006510: D9FE0200 B40000F7
	ds_read_b128 v[184:187], v247 offset:768                   // 000000006518: D9FE0300 B80000F7
	v_pk_mul_f32 v[100:101], v[158:159], v[100:101]            // 000000006520: D3B14064 1802C99E
	v_pk_mul_f32 v[102:103], v[158:159], v[102:103]            // 000000006528: D3B14066 1802CD9E
	v_pk_mul_f32 v[104:105], v[158:159], v[104:105]            // 000000006530: D3B14068 1802D19E
	v_pk_mul_f32 v[106:107], v[158:159], v[106:107]            // 000000006538: D3B1406A 1802D59E
	v_pk_mul_f32 v[108:109], v[160:161], v[108:109]            // 000000006540: D3B1406C 1802D9A0
	v_pk_mul_f32 v[110:111], v[160:161], v[110:111]            // 000000006548: D3B1406E 1802DDA0
	v_pk_mul_f32 v[112:113], v[160:161], v[112:113]            // 000000006550: D3B14070 1802E1A0
	v_pk_mul_f32 v[114:115], v[160:161], v[114:115]            // 000000006558: D3B14072 1802E5A0
	v_pk_mul_f32 v[116:117], v[162:163], v[116:117]            // 000000006560: D3B14074 1802E9A2
	v_pk_mul_f32 v[118:119], v[162:163], v[118:119]            // 000000006568: D3B14076 1802EDA2
	v_pk_mul_f32 v[120:121], v[162:163], v[120:121]            // 000000006570: D3B14078 1802F1A2
	v_pk_mul_f32 v[122:123], v[162:163], v[122:123]            // 000000006578: D3B1407A 1802F5A2
	s_waitcnt lgkmcnt(0)                                       // 000000006580: BF8CC07F
	v_max3_f32 v188, v172, v176, v188                          // 000000006584: D1D300BC 06F361AC
	v_max3_f32 v189, v173, v177, v189                          // 00000000658C: D1D300BD 06F763AD
	v_max3_f32 v190, v174, v178, v190                          // 000000006594: D1D300BE 06FB65AE
	v_max3_f32 v188, v180, v184, v188                          // 00000000659C: D1D300BC 06F371B4
	v_max3_f32 v189, v181, v185, v189                          // 0000000065A4: D1D300BD 06F773B5
	v_max3_f32 v190, v182, v186, v190                          // 0000000065AC: D1D300BE 06FB75B6
	v_max_f32_e32 v197, v188, v194                             // 0000000065B4: 178B85BC
	v_mul_f32_e64 v168, -s51, v197                             // 0000000065B8: D10500A8 20038A33
	v_mov_b32_e32 v169, v168                                   // 0000000065C0: 7F5203A8
	v_pk_fma_f32 v[4:5], v[4:5], s[86:87], v[168:169]          // 0000000065C4: D3B04004 1EA0AD04
	v_pk_fma_f32 v[6:7], v[6:7], s[86:87], v[168:169]          // 0000000065CC: D3B04006 1EA0AD06
	v_exp_f32_e32 v4, v4                                       // 0000000065D4: 7E084104
	v_exp_f32_e32 v5, v5                                       // 0000000065D8: 7E0A4105
	v_exp_f32_e32 v6, v6                                       // 0000000065DC: 7E0C4106
	v_exp_f32_e32 v7, v7                                       // 0000000065E0: 7E0E4107
	v_pk_fma_f32 v[8:9], v[8:9], s[86:87], v[168:169]          // 0000000065E4: D3B04008 1EA0AD08
	v_pk_fma_f32 v[10:11], v[10:11], s[86:87], v[168:169]      // 0000000065EC: D3B0400A 1EA0AD0A
	v_exp_f32_e32 v8, v8                                       // 0000000065F4: 7E104108
	v_exp_f32_e32 v9, v9                                       // 0000000065F8: 7E124109
	v_exp_f32_e32 v10, v10                                     // 0000000065FC: 7E14410A
	v_exp_f32_e32 v11, v11                                     // 000000006600: 7E16410B
	v_pk_fma_f32 v[12:13], v[12:13], s[86:87], v[168:169]      // 000000006604: D3B0400C 1EA0AD0C
	v_pk_fma_f32 v[14:15], v[14:15], s[86:87], v[168:169]      // 00000000660C: D3B0400E 1EA0AD0E
	v_exp_f32_e32 v12, v12                                     // 000000006614: 7E18410C
	v_exp_f32_e32 v13, v13                                     // 000000006618: 7E1A410D
	v_exp_f32_e32 v14, v14                                     // 00000000661C: 7E1C410E
	v_exp_f32_e32 v15, v15                                     // 000000006620: 7E1E410F
	v_pk_fma_f32 v[16:17], v[16:17], s[86:87], v[168:169]      // 000000006624: D3B04010 1EA0AD10
	v_pk_fma_f32 v[18:19], v[18:19], s[86:87], v[168:169]      // 00000000662C: D3B04012 1EA0AD12
	v_exp_f32_e32 v16, v16                                     // 000000006634: 7E204110
	v_exp_f32_e32 v17, v17                                     // 000000006638: 7E224111
	v_exp_f32_e32 v18, v18                                     // 00000000663C: 7E244112
	v_exp_f32_e32 v19, v19                                     // 000000006640: 7E264113
	v_max_f32_e32 v198, v189, v195                             // 000000006644: 178D87BD
	v_mul_f32_e64 v168, -s51, v198                             // 000000006648: D10500A8 20038C33
	v_mov_b32_e32 v169, v168                                   // 000000006650: 7F5203A8
	v_pk_fma_f32 v[20:21], v[20:21], s[86:87], v[168:169]      // 000000006654: D3B04014 1EA0AD14
	v_pk_fma_f32 v[22:23], v[22:23], s[86:87], v[168:169]      // 00000000665C: D3B04016 1EA0AD16
	v_exp_f32_e32 v20, v20                                     // 000000006664: 7E284114
	v_exp_f32_e32 v21, v21                                     // 000000006668: 7E2A4115
	v_exp_f32_e32 v22, v22                                     // 00000000666C: 7E2C4116
	v_exp_f32_e32 v23, v23                                     // 000000006670: 7E2E4117
	v_pk_fma_f32 v[24:25], v[24:25], s[86:87], v[168:169]      // 000000006674: D3B04018 1EA0AD18
	v_pk_fma_f32 v[26:27], v[26:27], s[86:87], v[168:169]      // 00000000667C: D3B0401A 1EA0AD1A
	v_exp_f32_e32 v24, v24                                     // 000000006684: 7E304118
	v_exp_f32_e32 v25, v25                                     // 000000006688: 7E324119
	v_exp_f32_e32 v26, v26                                     // 00000000668C: 7E34411A
	v_exp_f32_e32 v27, v27                                     // 000000006690: 7E36411B
	v_pk_fma_f32 v[28:29], v[28:29], s[86:87], v[168:169]      // 000000006694: D3B0401C 1EA0AD1C
	v_pk_fma_f32 v[30:31], v[30:31], s[86:87], v[168:169]      // 00000000669C: D3B0401E 1EA0AD1E
	v_exp_f32_e32 v28, v28                                     // 0000000066A4: 7E38411C
	v_exp_f32_e32 v29, v29                                     // 0000000066A8: 7E3A411D
	v_exp_f32_e32 v30, v30                                     // 0000000066AC: 7E3C411E
	v_exp_f32_e32 v31, v31                                     // 0000000066B0: 7E3E411F
	v_pk_fma_f32 v[32:33], v[32:33], s[86:87], v[168:169]      // 0000000066B4: D3B04020 1EA0AD20
	v_pk_fma_f32 v[34:35], v[34:35], s[86:87], v[168:169]      // 0000000066BC: D3B04022 1EA0AD22
	v_exp_f32_e32 v32, v32                                     // 0000000066C4: 7E404120
	v_exp_f32_e32 v33, v33                                     // 0000000066C8: 7E424121
	v_exp_f32_e32 v34, v34                                     // 0000000066CC: 7E444122
	v_exp_f32_e32 v35, v35                                     // 0000000066D0: 7E464123
	v_max_f32_e32 v199, v190, v196                             // 0000000066D4: 178F89BE
	v_mul_f32_e64 v168, -s51, v199                             // 0000000066D8: D10500A8 20038E33
	v_mov_b32_e32 v169, v168                                   // 0000000066E0: 7F5203A8
	v_pk_fma_f32 v[36:37], v[36:37], s[86:87], v[168:169]      // 0000000066E4: D3B04024 1EA0AD24
	v_pk_fma_f32 v[38:39], v[38:39], s[86:87], v[168:169]      // 0000000066EC: D3B04026 1EA0AD26
	v_exp_f32_e32 v36, v36                                     // 0000000066F4: 7E484124
	v_exp_f32_e32 v37, v37                                     // 0000000066F8: 7E4A4125
	v_exp_f32_e32 v38, v38                                     // 0000000066FC: 7E4C4126
	v_exp_f32_e32 v39, v39                                     // 000000006700: 7E4E4127
	v_pk_fma_f32 v[40:41], v[40:41], s[86:87], v[168:169]      // 000000006704: D3B04028 1EA0AD28
	v_pk_fma_f32 v[42:43], v[42:43], s[86:87], v[168:169]      // 00000000670C: D3B0402A 1EA0AD2A
	v_exp_f32_e32 v40, v40                                     // 000000006714: 7E504128
	v_exp_f32_e32 v41, v41                                     // 000000006718: 7E524129
	v_exp_f32_e32 v42, v42                                     // 00000000671C: 7E54412A
	v_exp_f32_e32 v43, v43                                     // 000000006720: 7E56412B
	v_mul_f32_dpp v52, v157, v4 row_newbcast:0 row_mask:0xf bank_mask:0xf// 000000006724: 0A6808FA FF01509D
	v_mul_f32_dpp v53, v157, v5 row_newbcast:1 row_mask:0xf bank_mask:0xf// 00000000672C: 0A6A0AFA FF01519D
	v_mul_f32_dpp v54, v157, v6 row_newbcast:2 row_mask:0xf bank_mask:0xf// 000000006734: 0A6C0CFA FF01529D
	v_mul_f32_dpp v55, v157, v7 row_newbcast:3 row_mask:0xf bank_mask:0xf// 00000000673C: 0A6E0EFA FF01539D
	v_mul_f32_dpp v56, v157, v8 row_newbcast:4 row_mask:0xf bank_mask:0xf// 000000006744: 0A7010FA FF01549D
	v_mul_f32_dpp v57, v157, v9 row_newbcast:5 row_mask:0xf bank_mask:0xf// 00000000674C: 0A7212FA FF01559D
	v_mul_f32_dpp v58, v157, v10 row_newbcast:6 row_mask:0xf bank_mask:0xf// 000000006754: 0A7414FA FF01569D
	v_mul_f32_dpp v59, v157, v11 row_newbcast:7 row_mask:0xf bank_mask:0xf// 00000000675C: 0A7616FA FF01579D
	v_mul_f32_dpp v60, v157, v12 row_newbcast:8 row_mask:0xf bank_mask:0xf// 000000006764: 0A7818FA FF01589D
	v_mul_f32_dpp v61, v157, v13 row_newbcast:9 row_mask:0xf bank_mask:0xf// 00000000676C: 0A7A1AFA FF01599D
	v_mul_f32_dpp v62, v157, v14 row_newbcast:10 row_mask:0xf bank_mask:0xf// 000000006774: 0A7C1CFA FF015A9D
	v_mul_f32_dpp v63, v157, v15 row_newbcast:11 row_mask:0xf bank_mask:0xf// 00000000677C: 0A7E1EFA FF015B9D
	v_mul_f32_dpp v64, v157, v16 row_newbcast:12 row_mask:0xf bank_mask:0xf// 000000006784: 0A8020FA FF015C9D
	v_mul_f32_dpp v65, v157, v17 row_newbcast:13 row_mask:0xf bank_mask:0xf// 00000000678C: 0A8222FA FF015D9D
	v_mul_f32_dpp v66, v157, v18 row_newbcast:14 row_mask:0xf bank_mask:0xf// 000000006794: 0A8424FA FF015E9D
	v_mul_f32_dpp v67, v157, v19 row_newbcast:15 row_mask:0xf bank_mask:0xf// 00000000679C: 0A8626FA FF015F9D
	v_mul_f32_dpp v68, v157, v20 row_newbcast:0 row_mask:0xf bank_mask:0xf// 0000000067A4: 0A8828FA FF01509D
	v_mul_f32_dpp v69, v157, v21 row_newbcast:1 row_mask:0xf bank_mask:0xf// 0000000067AC: 0A8A2AFA FF01519D
	v_mul_f32_dpp v70, v157, v22 row_newbcast:2 row_mask:0xf bank_mask:0xf// 0000000067B4: 0A8C2CFA FF01529D
	v_mul_f32_dpp v71, v157, v23 row_newbcast:3 row_mask:0xf bank_mask:0xf// 0000000067BC: 0A8E2EFA FF01539D
	v_mul_f32_dpp v72, v157, v24 row_newbcast:4 row_mask:0xf bank_mask:0xf// 0000000067C4: 0A9030FA FF01549D
	v_mul_f32_dpp v73, v157, v25 row_newbcast:5 row_mask:0xf bank_mask:0xf// 0000000067CC: 0A9232FA FF01559D
	v_mul_f32_dpp v74, v157, v26 row_newbcast:6 row_mask:0xf bank_mask:0xf// 0000000067D4: 0A9434FA FF01569D
	v_mul_f32_dpp v75, v157, v27 row_newbcast:7 row_mask:0xf bank_mask:0xf// 0000000067DC: 0A9636FA FF01579D
	v_mul_f32_dpp v76, v157, v28 row_newbcast:8 row_mask:0xf bank_mask:0xf// 0000000067E4: 0A9838FA FF01589D
	v_mul_f32_dpp v77, v157, v29 row_newbcast:9 row_mask:0xf bank_mask:0xf// 0000000067EC: 0A9A3AFA FF01599D
	v_mul_f32_dpp v78, v157, v30 row_newbcast:10 row_mask:0xf bank_mask:0xf// 0000000067F4: 0A9C3CFA FF015A9D
	v_mul_f32_dpp v79, v157, v31 row_newbcast:11 row_mask:0xf bank_mask:0xf// 0000000067FC: 0A9E3EFA FF015B9D
	v_mul_f32_dpp v80, v157, v32 row_newbcast:12 row_mask:0xf bank_mask:0xf// 000000006804: 0AA040FA FF015C9D
	v_mul_f32_dpp v81, v157, v33 row_newbcast:13 row_mask:0xf bank_mask:0xf// 00000000680C: 0AA242FA FF015D9D
	v_mul_f32_dpp v82, v157, v34 row_newbcast:14 row_mask:0xf bank_mask:0xf// 000000006814: 0AA444FA FF015E9D
	v_mul_f32_dpp v83, v157, v35 row_newbcast:15 row_mask:0xf bank_mask:0xf// 00000000681C: 0AA646FA FF015F9D
	v_mul_f32_dpp v84, v166, v36 quad_perm:[0,0,0,0] row_mask:0xf bank_mask:0xf// 000000006824: 0AA848FA FF0000A6
	v_mul_f32_dpp v85, v166, v37 quad_perm:[1,1,1,1] row_mask:0xf bank_mask:0xf// 00000000682C: 0AAA4AFA FF0055A6
	v_mul_f32_dpp v86, v166, v38 quad_perm:[2,2,2,2] row_mask:0xf bank_mask:0xf// 000000006834: 0AAC4CFA FF00AAA6
	v_mul_f32_dpp v87, v166, v39 quad_perm:[3,3,3,3] row_mask:0xf bank_mask:0xf// 00000000683C: 0AAE4EFA FF00FFA6
	v_mul_f32_dpp v88, v167, v40 quad_perm:[0,0,0,0] row_mask:0xf bank_mask:0xf// 000000006844: 0AB050FA FF0000A7
	v_mul_f32_dpp v89, v167, v41 quad_perm:[1,1,1,1] row_mask:0xf bank_mask:0xf// 00000000684C: 0AB252FA FF0055A7
	v_mul_f32_dpp v90, v167, v42 quad_perm:[2,2,2,2] row_mask:0xf bank_mask:0xf// 000000006854: 0AB454FA FF00AAA7
	v_mul_f32_dpp v91, v167, v43 quad_perm:[3,3,3,3] row_mask:0xf bank_mask:0xf// 00000000685C: 0AB656FA FF00FFA7
	v_mov_b32_e32 v190, 0x358637bd                             // 000000006864: 7F7C02FF 358637BD
	v_max3_f32 v190, |v84|, |v85|, v190                        // 00000000686C: D1D303BE 06FAAB54
	v_max3_f32 v190, |v86|, |v87|, v190                        // 000000006874: D1D303BE 06FAAF56
	v_max3_f32 v190, |v88|, |v89|, v190                        // 00000000687C: D1D303BE 06FAB358
	v_max3_f32 v190, |v90|, |v91|, v190                        // 000000006884: D1D303BE 06FAB75A
	v_mov_b32_e32 v189, 0x358637bd                             // 00000000688C: 7F7A02FF 358637BD
	v_max3_f32 v189, |v68|, |v69|, v189                        // 000000006894: D1D303BD 06F68B44
	v_max3_f32 v189, |v70|, |v71|, v189                        // 00000000689C: D1D303BD 06F68F46
	v_max3_f32 v189, |v72|, |v73|, v189                        // 0000000068A4: D1D303BD 06F69348
	v_max3_f32 v189, |v74|, |v75|, v189                        // 0000000068AC: D1D303BD 06F6974A
	v_max3_f32 v189, |v76|, |v77|, v189                        // 0000000068B4: D1D303BD 06F69B4C
	v_max3_f32 v189, |v78|, |v79|, v189                        // 0000000068BC: D1D303BD 06F69F4E
	v_max3_f32 v189, |v80|, |v81|, v189                        // 0000000068C4: D1D303BD 06F6A350
	v_max3_f32 v189, |v82|, |v83|, v189                        // 0000000068CC: D1D303BD 06F6A752
	v_mov_b32_e32 v188, 0x358637bd                             // 0000000068D4: 7F7802FF 358637BD
	v_max3_f32 v188, |v52|, |v53|, v188                        // 0000000068DC: D1D303BC 06F26B34
	v_max3_f32 v188, |v54|, |v55|, v188                        // 0000000068E4: D1D303BC 06F26F36
	v_max3_f32 v188, |v56|, |v57|, v188                        // 0000000068EC: D1D303BC 06F27338
	v_max3_f32 v188, |v58|, |v59|, v188                        // 0000000068F4: D1D303BC 06F2773A
	v_max3_f32 v188, |v60|, |v61|, v188                        // 0000000068FC: D1D303BC 06F27B3C
	v_max3_f32 v188, |v62|, |v63|, v188                        // 000000006904: D1D303BC 06F27F3E
	v_max3_f32 v188, |v64|, |v65|, v188                        // 00000000690C: D1D303BC 06F28340
	v_max3_f32 v188, |v66|, |v67|, v188                        // 000000006914: D1D303BC 06F28742
	v_max_f32_dpp v190, v190, v190 row_ror:8 row_mask:0xf bank_mask:0xf// 00000000691C: 177D7CFA FF0128BE
	ds_bpermute_b32 v172, v212, v188                           // 000000006924: D87E0000 AC00BCD4
	ds_bpermute_b32 v173, v213, v188                           // 00000000692C: D87E0000 AD00BCD5
	ds_bpermute_b32 v174, v214, v188                           // 000000006934: D87E0000 AE00BCD6
	ds_bpermute_b32 v175, v212, v189                           // 00000000693C: D87E0000 AF00BDD4
	ds_bpermute_b32 v176, v213, v189                           // 000000006944: D87E0000 B000BDD5
	ds_bpermute_b32 v177, v214, v189                           // 00000000694C: D87E0000 B100BDD6
	ds_bpermute_b32 v178, v212, v190                           // 000000006954: D87E0000 B200BED4
	ds_bpermute_b32 v179, v213, v190                           // 00000000695C: D87E0000 B300BED5
	ds_bpermute_b32 v180, v214, v190                           // 000000006964: D87E0000 B400BED6
	s_waitcnt lgkmcnt(6)                                       // 00000000696C: BF8CC67F
	v_max3_f32 v188, v172, v173, v188                          // 000000006970: D1D300BC 06F35BAC
	v_max_f32_e32 v188, v174, v188                             // 000000006978: 177979AE
	s_waitcnt lgkmcnt(3)                                       // 00000000697C: BF8CC37F
	v_max3_f32 v189, v175, v176, v189                          // 000000006980: D1D300BD 06F761AF
	v_max_f32_e32 v189, v177, v189                             // 000000006988: 177B7BB1
	s_waitcnt lgkmcnt(0)                                       // 00000000698C: BF8CC07F
	v_max3_f32 v190, v178, v179, v190                          // 000000006990: D1D300BE 06FB67B2
	v_max_f32_e32 v190, v180, v190                             // 000000006998: 177D7DB4
	ds_write_b128 v246, v[188:191] offset:4096                 // 00000000699C: D9BE1000 0000BCF6
	buffer_load_dword v154, v238, s[28:31], 0 offen            // 0000000069A4: E0501000 80079AEE
	v_sub_f32_e32 v200, v194, v197                             // 0000000069AC: 05918BC2
	v_cmp_eq_u32_e64 s[84:85], v225, v194                      // 0000000069B0: D0CA0054 000385E1
	v_cndmask_b32_e64 v200, v200, 0, s[84:85]                  // 0000000069B8: D10000C8 015101C8
	v_mov_b32_e32 v194, v197                                   // 0000000069C0: 7F8403C5
	v_mul_f32_e32 v200, s51, v200                              // 0000000069C4: 0B919033
	v_exp_f32_e32 v200, v200                                   // 0000000069C8: 7F9041C8
	v_sub_f32_e32 v202, v195, v198                             // 0000000069CC: 05958DC3
	v_cmp_eq_u32_e64 s[84:85], v225, v195                      // 0000000069D0: D0CA0054 000387E1
	v_cndmask_b32_e64 v202, v202, 0, s[84:85]                  // 0000000069D8: D10000CA 015101CA
	v_mov_b32_e32 v195, v198                                   // 0000000069E0: 7F8603C6
	v_mul_f32_e32 v202, s51, v202                              // 0000000069E4: 0B959433
	v_exp_f32_e32 v202, v202                                   // 0000000069E8: 7F9441CA
	v_sub_f32_e32 v204, v196, v199                             // 0000000069EC: 05998FC4
	v_cmp_eq_u32_e64 s[84:85], v225, v196                      // 0000000069F0: D0CA0054 000389E1
	v_cndmask_b32_e64 v204, v204, 0, s[84:85]                  // 0000000069F8: D10000CC 015101CC
	v_mov_b32_e32 v196, v199                                   // 000000006A00: 7F8803C7
	v_mul_f32_e32 v204, s51, v204                              // 000000006A04: 0B999833
	v_exp_f32_e32 v204, v204                                   // 000000006A08: 7F9841CC
	v_mov_b32_e32 v201, v200                                   // 000000006A0C: 7F9203C8
	v_mov_b32_e32 v203, v202                                   // 000000006A10: 7F9603CA
	v_mov_b32_e32 v205, v204                                   // 000000006A14: 7F9A03CC
	s_waitcnt lgkmcnt(0)                                       // 000000006A18: BF8CC07F
	s_barrier                                                  // 000000006A1C: BF8A0000
	ds_read_b128 v[172:175], v247 offset:4096                  // 000000006A20: D9FE1000 AC0000F7
	ds_read_b128 v[176:179], v247 offset:4352                  // 000000006A28: D9FE1100 B00000F7
	ds_read_b128 v[180:183], v247 offset:4608                  // 000000006A30: D9FE1200 B40000F7
	ds_read_b128 v[184:187], v247 offset:4864                  // 000000006A38: D9FE1300 B80000F7
	buffer_load_dword v156, v239, s[32:35], 0 offen            // 000000006A40: E0501000 80089CEF
	v_mul_f32_e32 v206, v200, v206                             // 000000006A48: 0B9D9DC8
	v_mov_b32_e32 v207, 0                                      // 000000006A4C: 7F9E0280
	v_pk_add_f32 v[206:207], v[4:5], v[206:207]                // 000000006A50: D3B240CE 18039D04
	v_pk_add_f32 v[206:207], v[6:7], v[206:207]                // 000000006A58: D3B240CE 18039D06
	v_pk_add_f32 v[206:207], v[8:9], v[206:207]                // 000000006A60: D3B240CE 18039D08
	v_pk_add_f32 v[206:207], v[10:11], v[206:207]              // 000000006A68: D3B240CE 18039D0A
	v_pk_add_f32 v[206:207], v[12:13], v[206:207]              // 000000006A70: D3B240CE 18039D0C
	v_pk_add_f32 v[206:207], v[14:15], v[206:207]              // 000000006A78: D3B240CE 18039D0E
	v_pk_add_f32 v[206:207], v[16:17], v[206:207]              // 000000006A80: D3B240CE 18039D10
	v_pk_add_f32 v[206:207], v[18:19], v[206:207]              // 000000006A88: D3B240CE 18039D12
	v_add_f32_e32 v206, v207, v206                             // 000000006A90: 039D9DCF
	v_mul_f32_e32 v208, v202, v208                             // 000000006A94: 0BA1A1CA
	v_mov_b32_e32 v209, 0                                      // 000000006A98: 7FA20280
	v_pk_add_f32 v[208:209], v[20:21], v[208:209]              // 000000006A9C: D3B240D0 1803A114
	v_pk_add_f32 v[208:209], v[22:23], v[208:209]              // 000000006AA4: D3B240D0 1803A116
	v_pk_add_f32 v[208:209], v[24:25], v[208:209]              // 000000006AAC: D3B240D0 1803A118
	v_pk_add_f32 v[208:209], v[26:27], v[208:209]              // 000000006AB4: D3B240D0 1803A11A
	v_pk_add_f32 v[208:209], v[28:29], v[208:209]              // 000000006ABC: D3B240D0 1803A11C
	v_pk_add_f32 v[208:209], v[30:31], v[208:209]              // 000000006AC4: D3B240D0 1803A11E
	v_pk_add_f32 v[208:209], v[32:33], v[208:209]              // 000000006ACC: D3B240D0 1803A120
	v_pk_add_f32 v[208:209], v[34:35], v[208:209]              // 000000006AD4: D3B240D0 1803A122
	v_add_f32_e32 v208, v209, v208                             // 000000006ADC: 03A1A1D1
	v_mul_f32_e32 v210, v204, v210                             // 000000006AE0: 0BA5A5CC
	v_mov_b32_e32 v211, 0                                      // 000000006AE4: 7FA60280
	v_pk_add_f32 v[210:211], v[36:37], v[210:211]              // 000000006AE8: D3B240D2 1803A524
	v_pk_add_f32 v[210:211], v[38:39], v[210:211]              // 000000006AF0: D3B240D2 1803A526
	v_pk_add_f32 v[210:211], v[40:41], v[210:211]              // 000000006AF8: D3B240D2 1803A528
	v_pk_add_f32 v[210:211], v[42:43], v[210:211]              // 000000006B00: D3B240D2 1803A52A
	v_add_f32_e32 v210, v211, v210                             // 000000006B08: 03A5A5D3
	s_waitcnt lgkmcnt(0)                                       // 000000006B0C: BF8CC07F
	v_max3_f32 v188, v172, v176, v188                          // 000000006B10: D1D300BC 06F361AC
	v_max3_f32 v189, v173, v177, v189                          // 000000006B18: D1D300BD 06F763AD
	v_max3_f32 v190, v174, v178, v190                          // 000000006B20: D1D300BE 06FB65AE
	v_max3_f32 v188, v180, v184, v188                          // 000000006B28: D1D300BC 06F371B4
	v_max3_f32 v189, v181, v185, v189                          // 000000006B30: D1D300BD 06F773B5
	v_max3_f32 v190, v182, v186, v190                          // 000000006B38: D1D300BE 06FB75B6
	v_rcp_f32_e32 v188, v188                                   // 000000006B40: 7F7845BC
	v_rcp_f32_e32 v189, v189                                   // 000000006B44: 7F7A45BD
	v_rcp_f32_e32 v190, v190                                   // 000000006B48: 7F7C45BE
	v_mul_f32_e32 v188, 0x43700000, v188                       // 000000006B4C: 0B7978FF 43700000
	v_mul_f32_e32 v189, 0x43700000, v189                       // 000000006B54: 0B7B7AFF 43700000
	v_mul_f32_e32 v190, 0x43700000, v190                       // 000000006B5C: 0B7D7CFF 43700000
	v_mov_b32_e32 v192, v190                                   // 000000006B64: 7F8003BE
	v_mov_b32_e32 v193, v190                                   // 000000006B68: 7F8203BE
	v_mov_b32_e32 v190, v189                                   // 000000006B6C: 7F7C03BD
	v_mov_b32_e32 v191, v189                                   // 000000006B70: 7F7E03BD
	v_mov_b32_e32 v189, v188                                   // 000000006B74: 7F7A03BC
	v_pk_mul_f32 v[4:5], v[188:189], v[52:53]                  // 000000006B78: D3B14004 180269BC
	v_pk_mul_f32 v[6:7], v[188:189], v[54:55]                  // 000000006B80: D3B14006 18026DBC
	v_pk_mul_f32 v[8:9], v[188:189], v[56:57]                  // 000000006B88: D3B14008 180271BC
	v_pk_mul_f32 v[10:11], v[188:189], v[58:59]                // 000000006B90: D3B1400A 180275BC
	v_pk_mul_f32 v[12:13], v[188:189], v[60:61]                // 000000006B98: D3B1400C 180279BC
	v_pk_mul_f32 v[14:15], v[188:189], v[62:63]                // 000000006BA0: D3B1400E 18027DBC
	v_pk_mul_f32 v[16:17], v[188:189], v[64:65]                // 000000006BA8: D3B14010 180281BC
	v_pk_mul_f32 v[18:19], v[188:189], v[66:67]                // 000000006BB0: D3B14012 180285BC
	v_pk_mul_f32 v[20:21], v[190:191], v[68:69]                // 000000006BB8: D3B14014 180289BE
	v_pk_mul_f32 v[22:23], v[190:191], v[70:71]                // 000000006BC0: D3B14016 18028DBE
	v_pk_mul_f32 v[24:25], v[190:191], v[72:73]                // 000000006BC8: D3B14018 180291BE
	v_pk_mul_f32 v[26:27], v[190:191], v[74:75]                // 000000006BD0: D3B1401A 180295BE
	v_pk_mul_f32 v[28:29], v[190:191], v[76:77]                // 000000006BD8: D3B1401C 180299BE
	v_pk_mul_f32 v[30:31], v[190:191], v[78:79]                // 000000006BE0: D3B1401E 18029DBE
	v_pk_mul_f32 v[32:33], v[190:191], v[80:81]                // 000000006BE8: D3B14020 1802A1BE
	v_pk_mul_f32 v[34:35], v[190:191], v[82:83]                // 000000006BF0: D3B14022 1802A5BE
	v_pk_mul_f32 v[36:37], v[192:193], v[84:85]                // 000000006BF8: D3B14024 1802A9C0
	v_pk_mul_f32 v[38:39], v[192:193], v[86:87]                // 000000006C00: D3B14026 1802ADC0
	v_pk_mul_f32 v[40:41], v[192:193], v[88:89]                // 000000006C08: D3B14028 1802B1C0
	v_pk_mul_f32 v[42:43], v[192:193], v[90:91]                // 000000006C10: D3B1402A 1802B5C0
	v_cvt_pk_fp8_f32 v4, v4, v5                                // 000000006C18: D2A20004 00020B04
	v_cvt_pk_fp8_f32 v4, v6, v7 op_sel:[0,0,1]                 // 000000006C20: D2A24004 00020F06
	v_cvt_pk_fp8_f32 v5, v8, v9                                // 000000006C28: D2A20005 00021308
	v_cvt_pk_fp8_f32 v5, v10, v11 op_sel:[0,0,1]               // 000000006C30: D2A24005 0002170A
	v_cvt_pk_fp8_f32 v6, v12, v13                              // 000000006C38: D2A20006 00021B0C
	v_cvt_pk_fp8_f32 v6, v14, v15 op_sel:[0,0,1]               // 000000006C40: D2A24006 00021F0E
	v_cvt_pk_fp8_f32 v7, v16, v17                              // 000000006C48: D2A20007 00022310
	v_cvt_pk_fp8_f32 v7, v18, v19 op_sel:[0,0,1]               // 000000006C50: D2A24007 00022712
	v_cvt_pk_fp8_f32 v8, v20, v21                              // 000000006C58: D2A20008 00022B14
	v_cvt_pk_fp8_f32 v8, v22, v23 op_sel:[0,0,1]               // 000000006C60: D2A24008 00022F16
	v_cvt_pk_fp8_f32 v9, v24, v25                              // 000000006C68: D2A20009 00023318
	v_cvt_pk_fp8_f32 v9, v26, v27 op_sel:[0,0,1]               // 000000006C70: D2A24009 0002371A
	v_cvt_pk_fp8_f32 v10, v28, v29                             // 000000006C78: D2A2000A 00023B1C
	v_cvt_pk_fp8_f32 v10, v30, v31 op_sel:[0,0,1]              // 000000006C80: D2A2400A 00023F1E
	v_cvt_pk_fp8_f32 v11, v32, v33                             // 000000006C88: D2A2000B 00024320
	v_cvt_pk_fp8_f32 v11, v34, v35 op_sel:[0,0,1]              // 000000006C90: D2A2400B 00024722
	v_cvt_pk_fp8_f32 v12, v36, v37                             // 000000006C98: D2A2000C 00024B24
	v_cvt_pk_fp8_f32 v12, v38, v39 op_sel:[0,0,1]              // 000000006CA0: D2A2400C 00024F26
	v_cvt_pk_fp8_f32 v13, v40, v41                             // 000000006CA8: D2A2000D 00025328
	v_cvt_pk_fp8_f32 v13, v42, v43 op_sel:[0,0,1]              // 000000006CB0: D2A2400D 0002572A
	v_mov_b32_dpp v14, v12 row_shl:8 row_mask:0xf bank_mask:0xf bound_ctrl:1// 000000006CB8: 7E1C02FA FF09080C
	v_and_b32_e32 v12, v12, v224                               // 000000006CC0: 2619C10C
	v_mov_b32_dpp v15, v13 row_shl:8 row_mask:0xf bank_mask:0xf bound_ctrl:1// 000000006CC4: 7E1E02FA FF09080D
	v_and_b32_e32 v13, v13, v224                               // 000000006CCC: 261BC10D
	ds_write_b32 v248, v4 offset:8192                          // 000000006CD0: D81A2000 000004F8
	ds_write_b32 v248, v5 offset:9216                          // 000000006CD8: D81A2400 000005F8
	ds_write_b32 v248, v6 offset:10240                         // 000000006CE0: D81A2800 000006F8
	ds_write_b32 v248, v7 offset:11264                         // 000000006CE8: D81A2C00 000007F8
	ds_write_b32 v248, v8 offset:12288                         // 000000006CF0: D81A3000 000008F8
	ds_write_b32 v248, v9 offset:13312                         // 000000006CF8: D81A3400 000009F8
	ds_write_b32 v248, v10 offset:14336                        // 000000006D00: D81A3800 00000AF8
	ds_write_b32 v248, v11 offset:15360                        // 000000006D08: D81A3C00 00000BF8
	ds_write_b32 v248, v12 offset:16384                        // 000000006D10: D81A4000 00000CF8
	ds_write_b32 v248, v13 offset:17408                        // 000000006D18: D81A4400 00000DF8
	ds_write_b32 v248, v14 offset:18432                        // 000000006D20: D81A4800 00000EF8
	ds_write_b32 v248, v15 offset:19456                        // 000000006D28: D81A4C00 00000FF8
	v_rcp_f32_e32 v158, v188                                   // 000000006D30: 7F3C45BC
	v_rcp_f32_e32 v160, v190                                   // 000000006D34: 7F4045BE
	v_rcp_f32_e32 v162, v192                                   // 000000006D38: 7F4445C0
	v_mov_b32_e32 v159, v158                                   // 000000006D3C: 7F3E039E
	v_mov_b32_e32 v161, v160                                   // 000000006D40: 7F4203A0
	v_mov_b32_e32 v163, v162                                   // 000000006D44: 7F4603A2
	v_pk_add_f32 v[124:125], v[124:125], v[100:101]            // 000000006D48: D3B2407C 1802C97C
	v_pk_add_f32 v[126:127], v[126:127], v[102:103]            // 000000006D50: D3B2407E 1802CD7E
	v_pk_add_f32 v[128:129], v[128:129], v[104:105]            // 000000006D58: D3B24080 1802D180
	v_pk_add_f32 v[130:131], v[130:131], v[106:107]            // 000000006D60: D3B24082 1802D582
	v_pk_add_f32 v[132:133], v[132:133], v[108:109]            // 000000006D68: D3B24084 1802D984
	v_pk_add_f32 v[134:135], v[134:135], v[110:111]            // 000000006D70: D3B24086 1802DD86
	v_pk_add_f32 v[136:137], v[136:137], v[112:113]            // 000000006D78: D3B24088 1802E188
	v_pk_add_f32 v[138:139], v[138:139], v[114:115]            // 000000006D80: D3B2408A 1802E58A
	v_pk_add_f32 v[140:141], v[140:141], v[116:117]            // 000000006D88: D3B2408C 1802E98C
	v_pk_add_f32 v[142:143], v[142:143], v[118:119]            // 000000006D90: D3B2408E 1802ED8E
	v_pk_add_f32 v[144:145], v[144:145], v[120:121]            // 000000006D98: D3B24090 1802F190
	v_pk_add_f32 v[146:147], v[146:147], v[122:123]            // 000000006DA0: D3B24092 1802F592
	s_waitcnt lgkmcnt(0)                                       // 000000006DA8: BF8CC07F
	s_barrier                                                  // 000000006DAC: BF8A0000
	ds_read_b128 v[4:7], v249 offset:8192                      // 000000006DB0: D9FE2000 040000F9
	ds_read_b128 v[8:11], v249 offset:9216                     // 000000006DB8: D9FE2400 080000F9
	ds_read_b128 v[12:15], v249 offset:10240                   // 000000006DC0: D9FE2800 0C0000F9
	ds_read_b128 v[16:19], v249 offset:11264                   // 000000006DC8: D9FE2C00 100000F9
	ds_read_b128 v[20:23], v249 offset:12288                   // 000000006DD0: D9FE3000 140000F9
	ds_read_b128 v[24:27], v249 offset:13312                   // 000000006DD8: D9FE3400 180000F9
	ds_read_b128 v[28:31], v249 offset:14336                   // 000000006DE0: D9FE3800 1C0000F9
	ds_read_b128 v[32:35], v249 offset:15360                   // 000000006DE8: D9FE3C00 200000F9
	ds_read_b128 v[36:39], v249 offset:16384                   // 000000006DF0: D9FE4000 240000F9
	ds_read_b128 v[40:43], v249 offset:17408                   // 000000006DF8: D9FE4400 280000F9
	ds_read_b128 v[44:47], v249 offset:18432                   // 000000006E00: D9FE4800 2C0000F9
	ds_read_b128 v[48:51], v249 offset:19456                   // 000000006E08: D9FE4C00 300000F9
	s_waitcnt vmcnt(10)                                        // 000000006E10: BF8C0F7A
	s_waitcnt lgkmcnt(11)                                      // 000000006E14: BF8CCB7F
	v_mfma_f32_16x16x32_fp8_fp8 v[100:103], a[120:121], v[4:5], 0// 000000006E18: D3F30064 0A020978
	v_mfma_f32_16x16x32_fp8_fp8 v[104:107], a[136:137], v[4:5], 0// 000000006E20: D3F30068 0A020988
	v_mfma_f32_16x16x32_fp8_fp8 v[100:103], a[122:123], v[6:7], v[100:103]// 000000006E28: D3F30064 0D920D7A
	buffer_load_dwordx4 a[88:91], v234, s[16:19], 0 offen      // 000000006E30: E05C1000 808458EA
	v_mfma_f32_16x16x32_fp8_fp8 v[104:107], a[138:139], v[6:7], v[104:107]// 000000006E38: D3F30068 0DA20D8A
	s_waitcnt lgkmcnt(10)                                      // 000000006E40: BF8CCA7F
	v_mfma_f32_16x16x32_fp8_fp8 v[100:103], a[124:125], v[8:9], v[100:103]// 000000006E44: D3F30064 0D92117C
	v_mfma_f32_16x16x32_fp8_fp8 v[104:107], a[140:141], v[8:9], v[104:107]// 000000006E4C: D3F30068 0DA2118C
	v_mfma_f32_16x16x32_fp8_fp8 v[100:103], a[126:127], v[10:11], v[100:103]// 000000006E54: D3F30064 0D92157E
	buffer_load_dwordx4 a[92:95], v235, s[16:19], 0 offen      // 000000006E5C: E05C1000 80845CEB
	v_mfma_f32_16x16x32_fp8_fp8 v[104:107], a[142:143], v[10:11], v[104:107]// 000000006E64: D3F30068 0DA2158E
	s_waitcnt lgkmcnt(9)                                       // 000000006E6C: BF8CC97F
	v_mfma_f32_16x16x32_fp8_fp8 v[100:103], a[128:129], v[12:13], v[100:103]// 000000006E70: D3F30064 0D921980
	v_mfma_f32_16x16x32_fp8_fp8 v[104:107], a[144:145], v[12:13], v[104:107]// 000000006E78: D3F30068 0DA21990
	v_mfma_f32_16x16x32_fp8_fp8 v[100:103], a[130:131], v[14:15], v[100:103]// 000000006E80: D3F30064 0D921D82
	buffer_load_dwordx4 a[96:99], v236, s[16:19], 0 offen      // 000000006E88: E05C1000 808460EC
	v_mfma_f32_16x16x32_fp8_fp8 v[104:107], a[146:147], v[14:15], v[104:107]// 000000006E90: D3F30068 0DA21D92
	s_waitcnt lgkmcnt(8)                                       // 000000006E98: BF8CC87F
	v_mfma_f32_16x16x32_fp8_fp8 v[100:103], a[132:133], v[16:17], v[100:103]// 000000006E9C: D3F30064 0D922184
	v_mfma_f32_16x16x32_fp8_fp8 v[104:107], a[148:149], v[16:17], v[104:107]// 000000006EA4: D3F30068 0DA22194
	v_mfma_f32_16x16x32_fp8_fp8 v[100:103], a[134:135], v[18:19], v[100:103]// 000000006EAC: D3F30064 0D922586
	buffer_load_dwordx4 a[100:103], v237, s[16:19], 0 offen    // 000000006EB4: E05C1000 808464ED
	v_mfma_f32_16x16x32_fp8_fp8 v[104:107], a[150:151], v[18:19], v[104:107]// 000000006EBC: D3F30068 0DA22596
	s_waitcnt lgkmcnt(7)                                       // 000000006EC4: BF8CC77F
	v_mfma_f32_16x16x32_fp8_fp8 v[108:111], a[120:121], v[20:21], 0// 000000006EC8: D3F3006C 0A022978
	v_mfma_f32_16x16x32_fp8_fp8 v[112:115], a[136:137], v[20:21], 0// 000000006ED0: D3F30070 0A022988
	v_mfma_f32_16x16x32_fp8_fp8 v[108:111], a[122:123], v[22:23], v[108:111]// 000000006ED8: D3F3006C 0DB22D7A
	buffer_load_dwordx4 a[104:107], v234, s[16:19], 0 offen offset:1024// 000000006EE0: E05C1400 808468EA
	v_mfma_f32_16x16x32_fp8_fp8 v[112:115], a[138:139], v[22:23], v[112:115]// 000000006EE8: D3F30070 0DC22D8A
	s_waitcnt lgkmcnt(6)                                       // 000000006EF0: BF8CC67F
	v_mfma_f32_16x16x32_fp8_fp8 v[108:111], a[124:125], v[24:25], v[108:111]// 000000006EF4: D3F3006C 0DB2317C
	v_mfma_f32_16x16x32_fp8_fp8 v[112:115], a[140:141], v[24:25], v[112:115]// 000000006EFC: D3F30070 0DC2318C
	v_mfma_f32_16x16x32_fp8_fp8 v[108:111], a[126:127], v[26:27], v[108:111]// 000000006F04: D3F3006C 0DB2357E
	buffer_load_dwordx4 a[108:111], v235, s[16:19], 0 offen offset:1024// 000000006F0C: E05C1400 80846CEB
	v_mfma_f32_16x16x32_fp8_fp8 v[112:115], a[142:143], v[26:27], v[112:115]// 000000006F14: D3F30070 0DC2358E
	s_waitcnt lgkmcnt(5)                                       // 000000006F1C: BF8CC57F
	v_mfma_f32_16x16x32_fp8_fp8 v[108:111], a[128:129], v[28:29], v[108:111]// 000000006F20: D3F3006C 0DB23980
	v_mfma_f32_16x16x32_fp8_fp8 v[112:115], a[144:145], v[28:29], v[112:115]// 000000006F28: D3F30070 0DC23990
	v_mfma_f32_16x16x32_fp8_fp8 v[108:111], a[130:131], v[30:31], v[108:111]// 000000006F30: D3F3006C 0DB23D82
	buffer_load_dwordx4 a[112:115], v236, s[16:19], 0 offen offset:1024// 000000006F38: E05C1400 808470EC
	v_mfma_f32_16x16x32_fp8_fp8 v[112:115], a[146:147], v[30:31], v[112:115]// 000000006F40: D3F30070 0DC23D92
	s_waitcnt lgkmcnt(4)                                       // 000000006F48: BF8CC47F
	v_mfma_f32_16x16x32_fp8_fp8 v[108:111], a[132:133], v[32:33], v[108:111]// 000000006F4C: D3F3006C 0DB24184
	v_mfma_f32_16x16x32_fp8_fp8 v[112:115], a[148:149], v[32:33], v[112:115]// 000000006F54: D3F30070 0DC24194
	v_mfma_f32_16x16x32_fp8_fp8 v[108:111], a[134:135], v[34:35], v[108:111]// 000000006F5C: D3F3006C 0DB24586
	buffer_load_dwordx4 a[116:119], v237, s[16:19], 0 offen offset:1024// 000000006F64: E05C1400 808474ED
	v_mfma_f32_16x16x32_fp8_fp8 v[112:115], a[150:151], v[34:35], v[112:115]// 000000006F6C: D3F30070 0DC24596
	s_waitcnt lgkmcnt(3)                                       // 000000006F74: BF8CC37F
	v_mfma_f32_16x16x32_fp8_fp8 v[116:119], a[120:121], v[36:37], 0// 000000006F78: D3F30074 0A024978
	v_mfma_f32_16x16x32_fp8_fp8 v[120:123], a[136:137], v[36:37], 0// 000000006F80: D3F30078 0A024988
	v_mfma_f32_16x16x32_fp8_fp8 v[116:119], a[122:123], v[38:39], v[116:119]// 000000006F88: D3F30074 0DD24D7A
	v_mfma_f32_16x16x32_fp8_fp8 v[120:123], a[138:139], v[38:39], v[120:123]// 000000006F90: D3F30078 0DE24D8A
	s_waitcnt lgkmcnt(2)                                       // 000000006F98: BF8CC27F
	v_mfma_f32_16x16x32_fp8_fp8 v[116:119], a[124:125], v[40:41], v[116:119]// 000000006F9C: D3F30074 0DD2517C
	v_mfma_f32_16x16x32_fp8_fp8 v[120:123], a[140:141], v[40:41], v[120:123]// 000000006FA4: D3F30078 0DE2518C
	v_mfma_f32_16x16x32_fp8_fp8 v[116:119], a[126:127], v[42:43], v[116:119]// 000000006FAC: D3F30074 0DD2557E
	v_mfma_f32_16x16x32_fp8_fp8 v[120:123], a[142:143], v[42:43], v[120:123]// 000000006FB4: D3F30078 0DE2558E
	s_waitcnt lgkmcnt(1)                                       // 000000006FBC: BF8CC17F
	v_mfma_f32_16x16x32_fp8_fp8 v[116:119], a[128:129], v[44:45], v[116:119]// 000000006FC0: D3F30074 0DD25980
	v_mfma_f32_16x16x32_fp8_fp8 v[120:123], a[144:145], v[44:45], v[120:123]// 000000006FC8: D3F30078 0DE25990
	v_mfma_f32_16x16x32_fp8_fp8 v[116:119], a[130:131], v[46:47], v[116:119]// 000000006FD0: D3F30074 0DD25D82
	v_mfma_f32_16x16x32_fp8_fp8 v[120:123], a[146:147], v[46:47], v[120:123]// 000000006FD8: D3F30078 0DE25D92
	s_waitcnt lgkmcnt(0)                                       // 000000006FE0: BF8CC07F
	v_mfma_f32_16x16x32_fp8_fp8 v[116:119], a[132:133], v[48:49], v[116:119]// 000000006FE4: D3F30074 0DD26184
	v_mfma_f32_16x16x32_fp8_fp8 v[120:123], a[148:149], v[48:49], v[120:123]// 000000006FEC: D3F30078 0DE26194
	v_mfma_f32_16x16x32_fp8_fp8 v[116:119], a[134:135], v[50:51], v[116:119]// 000000006FF4: D3F30074 0DD26586
	v_mfma_f32_16x16x32_fp8_fp8 v[120:123], a[150:151], v[50:51], v[120:123]// 000000006FFC: D3F30078 0DE26596
	s_addk_i32 s49, 0x100                                      // 000000007004: B7310100
	s_branch label_02B2                                        // 000000007008: BF82EEEF

000000000000700c <label_13C3>:
	s_cmp_lt_i32 s49, s50                                      // 00000000700C: BF043231
	s_cbranch_scc0 label_24D4                                  // 000000007010: BF84110F
	s_waitcnt vmcnt(10)                                        // 000000007014: BF8C0F7A
	v_mfma_f32_16x16x32_fp8_fp8 v[4:7], a[24:25], a[0:1], 0    // 000000007018: D3F30004 1A020118
	s_add_u32 s12, s76, s64                                    // 000000007020: 800C404C
	s_addc_u32 s13, s77, 0                                     // 000000007024: 820D804D
	v_mfma_f32_16x16x32_fp8_fp8 v[4:7], a[26:27], a[2:3], v[4:7]// 000000007028: D3F30004 1C12051A
	s_add_u32 s16, s78, s65                                    // 000000007030: 8010414E
	s_addc_u32 s17, s79, 0                                     // 000000007034: 8211804F
	v_mfma_f32_16x16x32_fp8_fp8 v[4:7], a[28:29], a[4:5], v[4:7]// 000000007038: D3F30004 1C12091C
	buffer_load_dwordx4 a[56:59], v232, s[12:15], 0 offen      // 000000007040: E05C1000 808338E8
	v_mfma_f32_16x16x32_fp8_fp8 v[4:7], a[30:31], a[6:7], v[4:7]// 000000007048: D3F30004 1C120D1E
	s_add_u32 s28, s80, s66                                    // 000000007050: 801C4250
	s_addc_u32 s29, s81, 0                                     // 000000007054: 821D8051
	v_mfma_f32_16x16x32_fp8_fp8 v[8:11], a[32:33], a[0:1], 0   // 000000007058: D3F30008 1A020120
	s_add_u32 s32, s82, s66                                    // 000000007060: 80204252
	s_addc_u32 s33, s83, 0                                     // 000000007064: 82218053
	v_mfma_f32_16x16x32_fp8_fp8 v[8:11], a[34:35], a[2:3], v[8:11]// 000000007068: D3F30008 1C220522
	s_add_u32 s64, s64, 0x1000                                 // 000000007070: 8040FF40 00001000
	s_add_u32 s65, s65, 0x8000                                 // 000000007078: 8041FF41 00008000
	v_mfma_f32_16x16x32_fp8_fp8 v[8:11], a[36:37], a[4:5], v[8:11]// 000000007080: D3F30008 1C220924
	buffer_load_dwordx4 a[60:63], v233, s[12:15], 0 offen      // 000000007088: E05C1000 80833CE9
	v_mfma_f32_16x16x32_fp8_fp8 v[8:11], a[38:39], a[6:7], v[8:11]// 000000007090: D3F30008 1C220D26
	s_add_u32 s66, s66, 0x400                                  // 000000007098: 8042FF42 00000400
	v_mfma_f32_16x16x32_fp8_fp8 v[12:15], a[40:41], a[0:1], 0  // 0000000070A0: D3F3000C 1A020128
	v_mfma_f32_16x16x32_fp8_fp8 v[12:15], a[42:43], a[2:3], v[12:15]// 0000000070A8: D3F3000C 1C32052A
	v_mfma_f32_16x16x32_fp8_fp8 v[12:15], a[44:45], a[4:5], v[12:15]// 0000000070B0: D3F3000C 1C32092C
	buffer_load_dwordx4 a[64:67], v232, s[12:15], 0 offen offset:1024// 0000000070B8: E05C1400 808340E8
	v_mfma_f32_16x16x32_fp8_fp8 v[12:15], a[46:47], a[6:7], v[12:15]// 0000000070C0: D3F3000C 1C320D2E
	v_mfma_f32_16x16x32_fp8_fp8 v[16:19], a[48:49], a[0:1], 0  // 0000000070C8: D3F30010 1A020130
	v_mfma_f32_16x16x32_fp8_fp8 v[16:19], a[50:51], a[2:3], v[16:19]// 0000000070D0: D3F30010 1C420532
	v_mfma_f32_16x16x32_fp8_fp8 v[16:19], a[52:53], a[4:5], v[16:19]// 0000000070D8: D3F30010 1C420934
	buffer_load_dwordx4 a[68:71], v233, s[12:15], 0 offen offset:1024// 0000000070E0: E05C1400 808344E9
	v_mfma_f32_16x16x32_fp8_fp8 v[16:19], a[54:55], a[6:7], v[16:19]// 0000000070E8: D3F30010 1C420D36
	v_mfma_f32_16x16x32_fp8_fp8 v[20:23], a[24:25], a[8:9], 0  // 0000000070F0: D3F30014 1A021118
	v_mfma_f32_16x16x32_fp8_fp8 v[20:23], a[26:27], a[10:11], v[20:23]// 0000000070F8: D3F30014 1C52151A
	v_mfma_f32_16x16x32_fp8_fp8 v[20:23], a[28:29], a[12:13], v[20:23]// 000000007100: D3F30014 1C52191C
	buffer_load_dwordx4 a[72:75], v232, s[12:15], 0 offen offset:2048// 000000007108: E05C1800 808348E8
	v_mfma_f32_16x16x32_fp8_fp8 v[20:23], a[30:31], a[14:15], v[20:23]// 000000007110: D3F30014 1C521D1E
	v_mfma_f32_16x16x32_fp8_fp8 v[24:27], a[32:33], a[8:9], 0  // 000000007118: D3F30018 1A021120
	v_mfma_f32_16x16x32_fp8_fp8 v[24:27], a[34:35], a[10:11], v[24:27]// 000000007120: D3F30018 1C621522
	v_mfma_f32_16x16x32_fp8_fp8 v[24:27], a[36:37], a[12:13], v[24:27]// 000000007128: D3F30018 1C621924
	buffer_load_dwordx4 a[76:79], v233, s[12:15], 0 offen offset:2048// 000000007130: E05C1800 80834CE9
	v_mfma_f32_16x16x32_fp8_fp8 v[24:27], a[38:39], a[14:15], v[24:27]// 000000007138: D3F30018 1C621D26
	v_mfma_f32_16x16x32_fp8_fp8 v[28:31], a[40:41], a[8:9], 0  // 000000007140: D3F3001C 1A021128
	v_mfma_f32_16x16x32_fp8_fp8 v[28:31], a[42:43], a[10:11], v[28:31]// 000000007148: D3F3001C 1C72152A
	v_mfma_f32_16x16x32_fp8_fp8 v[28:31], a[44:45], a[12:13], v[28:31]// 000000007150: D3F3001C 1C72192C
	buffer_load_dwordx4 a[80:83], v232, s[12:15], 0 offen offset:3072// 000000007158: E05C1C00 808350E8
	v_mfma_f32_16x16x32_fp8_fp8 v[28:31], a[46:47], a[14:15], v[28:31]// 000000007160: D3F3001C 1C721D2E
	v_mfma_f32_16x16x32_fp8_fp8 v[32:35], a[48:49], a[8:9], 0  // 000000007168: D3F30020 1A021130
	v_mfma_f32_16x16x32_fp8_fp8 v[32:35], a[50:51], a[10:11], v[32:35]// 000000007170: D3F30020 1C821532
	v_mfma_f32_16x16x32_fp8_fp8 v[32:35], a[52:53], a[12:13], v[32:35]// 000000007178: D3F30020 1C821934
	buffer_load_dwordx4 a[84:87], v233, s[12:15], 0 offen offset:3072// 000000007180: E05C1C00 808354E9
	v_mfma_f32_16x16x32_fp8_fp8 v[32:35], a[54:55], a[14:15], v[32:35]// 000000007188: D3F30020 1C821D36
	v_mfma_f32_16x16x32_fp8_fp8 v[36:39], a[24:25], a[16:17], 0// 000000007190: D3F30024 1A022118
	v_mfma_f32_16x16x32_fp8_fp8 v[36:39], a[26:27], a[18:19], v[36:39]// 000000007198: D3F30024 1C92251A
	v_mfma_f32_16x16x32_fp8_fp8 v[36:39], a[28:29], a[20:21], v[36:39]// 0000000071A0: D3F30024 1C92291C
	v_mfma_f32_16x16x32_fp8_fp8 v[36:39], a[30:31], a[22:23], v[36:39]// 0000000071A8: D3F30024 1C922D1E
	v_mfma_f32_16x16x32_fp8_fp8 v[40:43], a[32:33], a[16:17], 0// 0000000071B0: D3F30028 1A022120
	v_mfma_f32_16x16x32_fp8_fp8 v[40:43], a[34:35], a[18:19], v[40:43]// 0000000071B8: D3F30028 1CA22522
	v_mfma_f32_16x16x32_fp8_fp8 v[40:43], a[36:37], a[20:21], v[40:43]// 0000000071C0: D3F30028 1CA22924
	v_mfma_f32_16x16x32_fp8_fp8 v[40:43], a[38:39], a[22:23], v[40:43]// 0000000071C8: D3F30028 1CA22D26
	v_mfma_f32_16x16x32_fp8_fp8 v[44:47], a[40:41], a[16:17], 0// 0000000071D0: D3F3002C 1A022128
	v_mfma_f32_16x16x32_fp8_fp8 v[44:47], a[42:43], a[18:19], v[44:47]// 0000000071D8: D3F3002C 1CB2252A
	v_mfma_f32_16x16x32_fp8_fp8 v[44:47], a[44:45], a[20:21], v[44:47]// 0000000071E0: D3F3002C 1CB2292C
	v_mfma_f32_16x16x32_fp8_fp8 v[44:47], a[46:47], a[22:23], v[44:47]// 0000000071E8: D3F3002C 1CB22D2E
	v_mfma_f32_16x16x32_fp8_fp8 v[48:51], a[48:49], a[16:17], 0// 0000000071F0: D3F30030 1A022130
	v_mfma_f32_16x16x32_fp8_fp8 v[48:51], a[50:51], a[18:19], v[48:51]// 0000000071F8: D3F30030 1CC22532
	v_mfma_f32_16x16x32_fp8_fp8 v[48:51], a[52:53], a[20:21], v[48:51]// 000000007200: D3F30030 1CC22934
	v_mfma_f32_16x16x32_fp8_fp8 v[48:51], a[54:55], a[22:23], v[48:51]// 000000007208: D3F30030 1CC22D36
	s_waitcnt vmcnt(16)                                        // 000000007210: BF8C4F70
	v_or_b32_dpp v36, v44, v36 row_shr:8 row_mask:0xf bank_mask:0xf bound_ctrl:1// 000000007214: 284848FA FF09182C
	v_or_b32_dpp v37, v45, v37 row_shr:8 row_mask:0xf bank_mask:0xf bound_ctrl:1// 00000000721C: 284A4AFA FF09182D
	v_or_b32_dpp v38, v46, v38 row_shr:8 row_mask:0xf bank_mask:0xf bound_ctrl:1// 000000007224: 284C4CFA FF09182E
	v_or_b32_dpp v39, v47, v39 row_shr:8 row_mask:0xf bank_mask:0xf bound_ctrl:1// 00000000722C: 284E4EFA FF09182F
	v_or_b32_dpp v40, v48, v40 row_shr:8 row_mask:0xf bank_mask:0xf bound_ctrl:1// 000000007234: 285050FA FF091830
	v_or_b32_dpp v41, v49, v41 row_shr:8 row_mask:0xf bank_mask:0xf bound_ctrl:1// 00000000723C: 285252FA FF091831
	v_or_b32_dpp v42, v50, v42 row_shr:8 row_mask:0xf bank_mask:0xf bound_ctrl:1// 000000007244: 285454FA FF091832
	v_or_b32_dpp v43, v51, v43 row_shr:8 row_mask:0xf bank_mask:0xf bound_ctrl:1// 00000000724C: 285656FA FF091833
	v_mov_b32_dpp v168, v154 row_shr:4 row_mask:0xf bank_mask:0xf// 000000007254: 7F5002FA FF01149A
	v_mov_b32_dpp v169, v154 row_shl:4 row_mask:0xf bank_mask:0xf// 00000000725C: 7F5202FA FF01049A
	v_cndmask_b32_e64 v164, v154, v168, s[90:91]               // 000000007264: D10000A4 016B519A
	v_cndmask_b32_e64 v165, v169, v154, s[90:91]               // 00000000726C: D10000A5 016B35A9
	v_mov_b32_dpp v168, v156 row_shr:4 row_mask:0xf bank_mask:0xf// 000000007274: 7F5002FA FF01149C
	v_mov_b32_dpp v169, v156 row_shl:4 row_mask:0xf bank_mask:0xf// 00000000727C: 7F5202FA FF01049C
	v_cndmask_b32_e64 v166, v156, v168, s[90:91]               // 000000007284: D10000A6 016B519C
	v_cndmask_b32_e64 v167, v169, v156, s[90:91]               // 00000000728C: D10000A7 016B39A9
	v_pk_mul_f32 v[4:5], v[148:149], v[4:5]                    // 000000007294: D3B14004 18020994
	v_pk_mul_f32 v[6:7], v[148:149], v[6:7]                    // 00000000729C: D3B14006 18020D94
	v_pk_mul_f32 v[8:9], v[148:149], v[8:9]                    // 0000000072A4: D3B14008 18021194
	v_pk_mul_f32 v[10:11], v[148:149], v[10:11]                // 0000000072AC: D3B1400A 18021594
	v_pk_mul_f32 v[12:13], v[148:149], v[12:13]                // 0000000072B4: D3B1400C 18021994
	v_pk_mul_f32 v[14:15], v[148:149], v[14:15]                // 0000000072BC: D3B1400E 18021D94
	v_pk_mul_f32 v[16:17], v[148:149], v[16:17]                // 0000000072C4: D3B14010 18022194
	v_pk_mul_f32 v[18:19], v[148:149], v[18:19]                // 0000000072CC: D3B14012 18022594
	v_mul_f32_dpp v4, v154, v4 row_newbcast:0 row_mask:0xf bank_mask:0xf// 0000000072D4: 0A0808FA FF01509A
	v_mul_f32_dpp v5, v154, v5 row_newbcast:1 row_mask:0xf bank_mask:0xf// 0000000072DC: 0A0A0AFA FF01519A
	v_mul_f32_dpp v6, v154, v6 row_newbcast:2 row_mask:0xf bank_mask:0xf// 0000000072E4: 0A0C0CFA FF01529A
	v_mul_f32_dpp v7, v154, v7 row_newbcast:3 row_mask:0xf bank_mask:0xf// 0000000072EC: 0A0E0EFA FF01539A
	v_mul_f32_dpp v8, v154, v8 row_newbcast:4 row_mask:0xf bank_mask:0xf// 0000000072F4: 0A1010FA FF01549A
	v_mul_f32_dpp v9, v154, v9 row_newbcast:5 row_mask:0xf bank_mask:0xf// 0000000072FC: 0A1212FA FF01559A
	v_mul_f32_dpp v10, v154, v10 row_newbcast:6 row_mask:0xf bank_mask:0xf// 000000007304: 0A1414FA FF01569A
	v_mul_f32_dpp v11, v154, v11 row_newbcast:7 row_mask:0xf bank_mask:0xf// 00000000730C: 0A1616FA FF01579A
	v_mul_f32_dpp v12, v154, v12 row_newbcast:8 row_mask:0xf bank_mask:0xf// 000000007314: 0A1818FA FF01589A
	v_mul_f32_dpp v13, v154, v13 row_newbcast:9 row_mask:0xf bank_mask:0xf// 00000000731C: 0A1A1AFA FF01599A
	v_mul_f32_dpp v14, v154, v14 row_newbcast:10 row_mask:0xf bank_mask:0xf// 000000007324: 0A1C1CFA FF015A9A
	v_mul_f32_dpp v15, v154, v15 row_newbcast:11 row_mask:0xf bank_mask:0xf// 00000000732C: 0A1E1EFA FF015B9A
	v_mul_f32_dpp v16, v154, v16 row_newbcast:12 row_mask:0xf bank_mask:0xf// 000000007334: 0A2020FA FF015C9A
	v_mul_f32_dpp v17, v154, v17 row_newbcast:13 row_mask:0xf bank_mask:0xf// 00000000733C: 0A2222FA FF015D9A
	v_mul_f32_dpp v18, v154, v18 row_newbcast:14 row_mask:0xf bank_mask:0xf// 000000007344: 0A2424FA FF015E9A
	v_mul_f32_dpp v19, v154, v19 row_newbcast:15 row_mask:0xf bank_mask:0xf// 00000000734C: 0A2626FA FF015F9A
	v_pk_mul_f32 v[20:21], v[150:151], v[20:21]                // 000000007354: D3B14014 18022996
	v_pk_mul_f32 v[22:23], v[150:151], v[22:23]                // 00000000735C: D3B14016 18022D96
	v_pk_mul_f32 v[24:25], v[150:151], v[24:25]                // 000000007364: D3B14018 18023196
	v_pk_mul_f32 v[26:27], v[150:151], v[26:27]                // 00000000736C: D3B1401A 18023596
	v_pk_mul_f32 v[28:29], v[150:151], v[28:29]                // 000000007374: D3B1401C 18023996
	v_pk_mul_f32 v[30:31], v[150:151], v[30:31]                // 00000000737C: D3B1401E 18023D96
	v_pk_mul_f32 v[32:33], v[150:151], v[32:33]                // 000000007384: D3B14020 18024196
	v_pk_mul_f32 v[34:35], v[150:151], v[34:35]                // 00000000738C: D3B14022 18024596
	v_mul_f32_dpp v20, v154, v20 row_newbcast:0 row_mask:0xf bank_mask:0xf// 000000007394: 0A2828FA FF01509A
	v_mul_f32_dpp v21, v154, v21 row_newbcast:1 row_mask:0xf bank_mask:0xf// 00000000739C: 0A2A2AFA FF01519A
	v_mul_f32_dpp v22, v154, v22 row_newbcast:2 row_mask:0xf bank_mask:0xf// 0000000073A4: 0A2C2CFA FF01529A
	v_mul_f32_dpp v23, v154, v23 row_newbcast:3 row_mask:0xf bank_mask:0xf// 0000000073AC: 0A2E2EFA FF01539A
	v_mul_f32_dpp v24, v154, v24 row_newbcast:4 row_mask:0xf bank_mask:0xf// 0000000073B4: 0A3030FA FF01549A
	v_mul_f32_dpp v25, v154, v25 row_newbcast:5 row_mask:0xf bank_mask:0xf// 0000000073BC: 0A3232FA FF01559A
	v_mul_f32_dpp v26, v154, v26 row_newbcast:6 row_mask:0xf bank_mask:0xf// 0000000073C4: 0A3434FA FF01569A
	v_mul_f32_dpp v27, v154, v27 row_newbcast:7 row_mask:0xf bank_mask:0xf// 0000000073CC: 0A3636FA FF01579A
	v_mul_f32_dpp v28, v154, v28 row_newbcast:8 row_mask:0xf bank_mask:0xf// 0000000073D4: 0A3838FA FF01589A
	v_mul_f32_dpp v29, v154, v29 row_newbcast:9 row_mask:0xf bank_mask:0xf// 0000000073DC: 0A3A3AFA FF01599A
	v_mul_f32_dpp v30, v154, v30 row_newbcast:10 row_mask:0xf bank_mask:0xf// 0000000073E4: 0A3C3CFA FF015A9A
	v_mul_f32_dpp v31, v154, v31 row_newbcast:11 row_mask:0xf bank_mask:0xf// 0000000073EC: 0A3E3EFA FF015B9A
	v_mul_f32_dpp v32, v154, v32 row_newbcast:12 row_mask:0xf bank_mask:0xf// 0000000073F4: 0A4040FA FF015C9A
	v_mul_f32_dpp v33, v154, v33 row_newbcast:13 row_mask:0xf bank_mask:0xf// 0000000073FC: 0A4242FA FF015D9A
	v_mul_f32_dpp v34, v154, v34 row_newbcast:14 row_mask:0xf bank_mask:0xf// 000000007404: 0A4444FA FF015E9A
	v_mul_f32_dpp v35, v154, v35 row_newbcast:15 row_mask:0xf bank_mask:0xf// 00000000740C: 0A4646FA FF015F9A
	v_pk_mul_f32 v[36:37], v[152:153], v[36:37]                // 000000007414: D3B14024 18024998
	v_pk_mul_f32 v[38:39], v[152:153], v[38:39]                // 00000000741C: D3B14026 18024D98
	v_pk_mul_f32 v[40:41], v[152:153], v[40:41]                // 000000007424: D3B14028 18025198
	v_pk_mul_f32 v[42:43], v[152:153], v[42:43]                // 00000000742C: D3B1402A 18025598
	v_mul_f32_dpp v36, v164, v36 quad_perm:[0,0,0,0] row_mask:0xf bank_mask:0xf// 000000007434: 0A4848FA FF0000A4
	v_mul_f32_dpp v37, v164, v37 quad_perm:[1,1,1,1] row_mask:0xf bank_mask:0xf// 00000000743C: 0A4A4AFA FF0055A4
	v_mul_f32_dpp v38, v164, v38 quad_perm:[2,2,2,2] row_mask:0xf bank_mask:0xf// 000000007444: 0A4C4CFA FF00AAA4
	v_mul_f32_dpp v39, v164, v39 quad_perm:[3,3,3,3] row_mask:0xf bank_mask:0xf// 00000000744C: 0A4E4EFA FF00FFA4
	v_mul_f32_dpp v40, v165, v40 quad_perm:[0,0,0,0] row_mask:0xf bank_mask:0xf// 000000007454: 0A5050FA FF0000A5
	v_mul_f32_dpp v41, v165, v41 quad_perm:[1,1,1,1] row_mask:0xf bank_mask:0xf// 00000000745C: 0A5252FA FF0055A5
	v_mul_f32_dpp v42, v165, v42 quad_perm:[2,2,2,2] row_mask:0xf bank_mask:0xf// 000000007464: 0A5454FA FF00AAA5
	v_mul_f32_dpp v43, v165, v43 quad_perm:[3,3,3,3] row_mask:0xf bank_mask:0xf// 00000000746C: 0A5656FA FF00FFA5
	v_mov_b32_e32 v190, v36                                    // 000000007474: 7F7C0324
	v_max3_f32 v190, v36, v37, v190                            // 000000007478: D1D300BE 06FA4B24
	v_max3_f32 v190, v38, v39, v190                            // 000000007480: D1D300BE 06FA4F26
	v_max3_f32 v190, v40, v41, v190                            // 000000007488: D1D300BE 06FA5328
	v_max3_f32 v190, v42, v43, v190                            // 000000007490: D1D300BE 06FA572A
	v_mov_b32_e32 v189, v20                                    // 000000007498: 7F7A0314
	v_max3_f32 v189, v20, v21, v189                            // 00000000749C: D1D300BD 06F62B14
	v_max3_f32 v189, v22, v23, v189                            // 0000000074A4: D1D300BD 06F62F16
	v_max3_f32 v189, v24, v25, v189                            // 0000000074AC: D1D300BD 06F63318
	v_max3_f32 v189, v26, v27, v189                            // 0000000074B4: D1D300BD 06F6371A
	v_max3_f32 v189, v28, v29, v189                            // 0000000074BC: D1D300BD 06F63B1C
	v_max3_f32 v189, v30, v31, v189                            // 0000000074C4: D1D300BD 06F63F1E
	v_max3_f32 v189, v32, v33, v189                            // 0000000074CC: D1D300BD 06F64320
	v_max3_f32 v189, v34, v35, v189                            // 0000000074D4: D1D300BD 06F64722
	v_mov_b32_e32 v188, v4                                     // 0000000074DC: 7F780304
	v_max3_f32 v188, v4, v5, v188                              // 0000000074E0: D1D300BC 06F20B04
	v_max3_f32 v188, v6, v7, v188                              // 0000000074E8: D1D300BC 06F20F06
	v_max3_f32 v188, v8, v9, v188                              // 0000000074F0: D1D300BC 06F21308
	v_max3_f32 v188, v10, v11, v188                            // 0000000074F8: D1D300BC 06F2170A
	v_max3_f32 v188, v12, v13, v188                            // 000000007500: D1D300BC 06F21B0C
	v_max3_f32 v188, v14, v15, v188                            // 000000007508: D1D300BC 06F21F0E
	v_max3_f32 v188, v16, v17, v188                            // 000000007510: D1D300BC 06F22310
	v_max3_f32 v188, v18, v19, v188                            // 000000007518: D1D300BC 06F22712
	v_max_f32_dpp v190, v190, v190 row_ror:8 row_mask:0xf bank_mask:0xf// 000000007520: 177D7CFA FF0128BE
	v_pk_mul_f32 v[124:125], v[200:201], v[124:125]            // 000000007528: D3B1407C 1802F9C8
	v_pk_mul_f32 v[126:127], v[200:201], v[126:127]            // 000000007530: D3B1407E 1802FDC8
	v_pk_mul_f32 v[128:129], v[200:201], v[128:129]            // 000000007538: D3B14080 180301C8
	v_pk_mul_f32 v[130:131], v[200:201], v[130:131]            // 000000007540: D3B14082 180305C8
	v_pk_mul_f32 v[132:133], v[202:203], v[132:133]            // 000000007548: D3B14084 180309CA
	v_pk_mul_f32 v[134:135], v[202:203], v[134:135]            // 000000007550: D3B14086 18030DCA
	v_pk_mul_f32 v[136:137], v[202:203], v[136:137]            // 000000007558: D3B14088 180311CA
	v_pk_mul_f32 v[138:139], v[202:203], v[138:139]            // 000000007560: D3B1408A 180315CA
	v_pk_mul_f32 v[140:141], v[204:205], v[140:141]            // 000000007568: D3B1408C 180319CC
	v_pk_mul_f32 v[142:143], v[204:205], v[142:143]            // 000000007570: D3B1408E 18031DCC
	v_pk_mul_f32 v[144:145], v[204:205], v[144:145]            // 000000007578: D3B14090 180321CC
	v_pk_mul_f32 v[146:147], v[204:205], v[146:147]            // 000000007580: D3B14092 180325CC
	ds_bpermute_b32 v172, v212, v188                           // 000000007588: D87E0000 AC00BCD4
	ds_bpermute_b32 v173, v213, v188                           // 000000007590: D87E0000 AD00BCD5
	ds_bpermute_b32 v174, v214, v188                           // 000000007598: D87E0000 AE00BCD6
	ds_bpermute_b32 v175, v212, v189                           // 0000000075A0: D87E0000 AF00BDD4
	ds_bpermute_b32 v176, v213, v189                           // 0000000075A8: D87E0000 B000BDD5
	ds_bpermute_b32 v177, v214, v189                           // 0000000075B0: D87E0000 B100BDD6
	ds_bpermute_b32 v178, v212, v190                           // 0000000075B8: D87E0000 B200BED4
	ds_bpermute_b32 v179, v213, v190                           // 0000000075C0: D87E0000 B300BED5
	ds_bpermute_b32 v180, v214, v190                           // 0000000075C8: D87E0000 B400BED6
	s_waitcnt lgkmcnt(6)                                       // 0000000075D0: BF8CC67F
	v_max3_f32 v188, v172, v173, v188                          // 0000000075D4: D1D300BC 06F35BAC
	v_max_f32_e32 v188, v174, v188                             // 0000000075DC: 177979AE
	s_waitcnt lgkmcnt(3)                                       // 0000000075E0: BF8CC37F
	v_max3_f32 v189, v175, v176, v189                          // 0000000075E4: D1D300BD 06F761AF
	v_max_f32_e32 v189, v177, v189                             // 0000000075EC: 177B7BB1
	s_waitcnt lgkmcnt(0)                                       // 0000000075F0: BF8CC07F
	v_max3_f32 v190, v178, v179, v190                          // 0000000075F4: D1D300BE 06FB67B2
	v_max_f32_e32 v190, v180, v190                             // 0000000075FC: 177D7DB4
	ds_write_b128 v246, v[188:191]                             // 000000007600: D9BE0000 0000BCF6
	s_waitcnt lgkmcnt(0)                                       // 000000007608: BF8CC07F
	s_barrier                                                  // 00000000760C: BF8A0000
	v_pk_mul_f32 v[100:101], v[158:159], v[100:101]            // 000000007610: D3B14064 1802C99E
	v_pk_mul_f32 v[102:103], v[158:159], v[102:103]            // 000000007618: D3B14066 1802CD9E
	v_pk_mul_f32 v[104:105], v[158:159], v[104:105]            // 000000007620: D3B14068 1802D19E
	v_pk_mul_f32 v[106:107], v[158:159], v[106:107]            // 000000007628: D3B1406A 1802D59E
	v_pk_mul_f32 v[108:109], v[160:161], v[108:109]            // 000000007630: D3B1406C 1802D9A0
	v_pk_mul_f32 v[110:111], v[160:161], v[110:111]            // 000000007638: D3B1406E 1802DDA0
	v_pk_mul_f32 v[112:113], v[160:161], v[112:113]            // 000000007640: D3B14070 1802E1A0
	v_pk_mul_f32 v[114:115], v[160:161], v[114:115]            // 000000007648: D3B14072 1802E5A0
	v_pk_mul_f32 v[116:117], v[162:163], v[116:117]            // 000000007650: D3B14074 1802E9A2
	v_pk_mul_f32 v[118:119], v[162:163], v[118:119]            // 000000007658: D3B14076 1802EDA2
	v_pk_mul_f32 v[120:121], v[162:163], v[120:121]            // 000000007660: D3B14078 1802F1A2
	v_pk_mul_f32 v[122:123], v[162:163], v[122:123]            // 000000007668: D3B1407A 1802F5A2
	ds_read_b128 v[172:175], v247                              // 000000007670: D9FE0000 AC0000F7
	ds_read_b128 v[176:179], v247 offset:256                   // 000000007678: D9FE0100 B00000F7
	ds_read_b128 v[180:183], v247 offset:512                   // 000000007680: D9FE0200 B40000F7
	ds_read_b128 v[184:187], v247 offset:768                   // 000000007688: D9FE0300 B80000F7
	s_waitcnt lgkmcnt(0)                                       // 000000007690: BF8CC07F
	v_max3_f32 v188, v172, v176, v188                          // 000000007694: D1D300BC 06F361AC
	v_max3_f32 v189, v173, v177, v189                          // 00000000769C: D1D300BD 06F763AD
	v_max3_f32 v190, v174, v178, v190                          // 0000000076A4: D1D300BE 06FB65AE
	v_max3_f32 v188, v180, v184, v188                          // 0000000076AC: D1D300BC 06F371B4
	v_max3_f32 v189, v181, v185, v189                          // 0000000076B4: D1D300BD 06F773B5
	v_max3_f32 v190, v182, v186, v190                          // 0000000076BC: D1D300BE 06FB75B6
	v_max_f32_e32 v197, v188, v194                             // 0000000076C4: 178B85BC
	v_mul_f32_e64 v168, -s51, v197                             // 0000000076C8: D10500A8 20038A33
	v_mov_b32_e32 v169, v168                                   // 0000000076D0: 7F5203A8
	v_pk_fma_f32 v[4:5], v[4:5], s[86:87], v[168:169]          // 0000000076D4: D3B04004 1EA0AD04
	v_pk_fma_f32 v[6:7], v[6:7], s[86:87], v[168:169]          // 0000000076DC: D3B04006 1EA0AD06
	v_exp_f32_e32 v4, v4                                       // 0000000076E4: 7E084104
	v_exp_f32_e32 v5, v5                                       // 0000000076E8: 7E0A4105
	v_exp_f32_e32 v6, v6                                       // 0000000076EC: 7E0C4106
	v_exp_f32_e32 v7, v7                                       // 0000000076F0: 7E0E4107
	v_pk_fma_f32 v[8:9], v[8:9], s[86:87], v[168:169]          // 0000000076F4: D3B04008 1EA0AD08
	v_pk_fma_f32 v[10:11], v[10:11], s[86:87], v[168:169]      // 0000000076FC: D3B0400A 1EA0AD0A
	v_exp_f32_e32 v8, v8                                       // 000000007704: 7E104108
	v_exp_f32_e32 v9, v9                                       // 000000007708: 7E124109
	v_exp_f32_e32 v10, v10                                     // 00000000770C: 7E14410A
	v_exp_f32_e32 v11, v11                                     // 000000007710: 7E16410B
	v_pk_fma_f32 v[12:13], v[12:13], s[86:87], v[168:169]      // 000000007714: D3B0400C 1EA0AD0C
	v_pk_fma_f32 v[14:15], v[14:15], s[86:87], v[168:169]      // 00000000771C: D3B0400E 1EA0AD0E
	v_exp_f32_e32 v12, v12                                     // 000000007724: 7E18410C
	v_exp_f32_e32 v13, v13                                     // 000000007728: 7E1A410D
	v_exp_f32_e32 v14, v14                                     // 00000000772C: 7E1C410E
	v_exp_f32_e32 v15, v15                                     // 000000007730: 7E1E410F
	v_pk_fma_f32 v[16:17], v[16:17], s[86:87], v[168:169]      // 000000007734: D3B04010 1EA0AD10
	v_pk_fma_f32 v[18:19], v[18:19], s[86:87], v[168:169]      // 00000000773C: D3B04012 1EA0AD12
	v_exp_f32_e32 v16, v16                                     // 000000007744: 7E204110
	v_exp_f32_e32 v17, v17                                     // 000000007748: 7E224111
	v_exp_f32_e32 v18, v18                                     // 00000000774C: 7E244112
	v_exp_f32_e32 v19, v19                                     // 000000007750: 7E264113
	v_max_f32_e32 v198, v189, v195                             // 000000007754: 178D87BD
	v_mul_f32_e64 v168, -s51, v198                             // 000000007758: D10500A8 20038C33
	v_mov_b32_e32 v169, v168                                   // 000000007760: 7F5203A8
	v_pk_fma_f32 v[20:21], v[20:21], s[86:87], v[168:169]      // 000000007764: D3B04014 1EA0AD14
	v_pk_fma_f32 v[22:23], v[22:23], s[86:87], v[168:169]      // 00000000776C: D3B04016 1EA0AD16
	v_exp_f32_e32 v20, v20                                     // 000000007774: 7E284114
	v_exp_f32_e32 v21, v21                                     // 000000007778: 7E2A4115
	v_exp_f32_e32 v22, v22                                     // 00000000777C: 7E2C4116
	v_exp_f32_e32 v23, v23                                     // 000000007780: 7E2E4117
	v_pk_fma_f32 v[24:25], v[24:25], s[86:87], v[168:169]      // 000000007784: D3B04018 1EA0AD18
	v_pk_fma_f32 v[26:27], v[26:27], s[86:87], v[168:169]      // 00000000778C: D3B0401A 1EA0AD1A
	v_exp_f32_e32 v24, v24                                     // 000000007794: 7E304118
	v_exp_f32_e32 v25, v25                                     // 000000007798: 7E324119
	v_exp_f32_e32 v26, v26                                     // 00000000779C: 7E34411A
	v_exp_f32_e32 v27, v27                                     // 0000000077A0: 7E36411B
	v_pk_fma_f32 v[28:29], v[28:29], s[86:87], v[168:169]      // 0000000077A4: D3B0401C 1EA0AD1C
	v_pk_fma_f32 v[30:31], v[30:31], s[86:87], v[168:169]      // 0000000077AC: D3B0401E 1EA0AD1E
	v_exp_f32_e32 v28, v28                                     // 0000000077B4: 7E38411C
	v_exp_f32_e32 v29, v29                                     // 0000000077B8: 7E3A411D
	v_exp_f32_e32 v30, v30                                     // 0000000077BC: 7E3C411E
	v_exp_f32_e32 v31, v31                                     // 0000000077C0: 7E3E411F
	v_pk_fma_f32 v[32:33], v[32:33], s[86:87], v[168:169]      // 0000000077C4: D3B04020 1EA0AD20
	v_pk_fma_f32 v[34:35], v[34:35], s[86:87], v[168:169]      // 0000000077CC: D3B04022 1EA0AD22
	v_exp_f32_e32 v32, v32                                     // 0000000077D4: 7E404120
	v_exp_f32_e32 v33, v33                                     // 0000000077D8: 7E424121
	v_exp_f32_e32 v34, v34                                     // 0000000077DC: 7E444122
	v_exp_f32_e32 v35, v35                                     // 0000000077E0: 7E464123
	v_max_f32_e32 v199, v190, v196                             // 0000000077E4: 178F89BE
	v_mul_f32_e64 v168, -s51, v199                             // 0000000077E8: D10500A8 20038E33
	v_mov_b32_e32 v169, v168                                   // 0000000077F0: 7F5203A8
	v_pk_fma_f32 v[36:37], v[36:37], s[86:87], v[168:169]      // 0000000077F4: D3B04024 1EA0AD24
	v_pk_fma_f32 v[38:39], v[38:39], s[86:87], v[168:169]      // 0000000077FC: D3B04026 1EA0AD26
	v_exp_f32_e32 v36, v36                                     // 000000007804: 7E484124
	v_exp_f32_e32 v37, v37                                     // 000000007808: 7E4A4125
	v_exp_f32_e32 v38, v38                                     // 00000000780C: 7E4C4126
	v_exp_f32_e32 v39, v39                                     // 000000007810: 7E4E4127
	v_pk_fma_f32 v[40:41], v[40:41], s[86:87], v[168:169]      // 000000007814: D3B04028 1EA0AD28
	v_pk_fma_f32 v[42:43], v[42:43], s[86:87], v[168:169]      // 00000000781C: D3B0402A 1EA0AD2A
	v_exp_f32_e32 v40, v40                                     // 000000007824: 7E504128
	v_exp_f32_e32 v41, v41                                     // 000000007828: 7E524129
	v_exp_f32_e32 v42, v42                                     // 00000000782C: 7E54412A
	v_exp_f32_e32 v43, v43                                     // 000000007830: 7E56412B
	v_mul_f32_dpp v52, v156, v4 row_newbcast:0 row_mask:0xf bank_mask:0xf// 000000007834: 0A6808FA FF01509C
	v_mul_f32_dpp v53, v156, v5 row_newbcast:1 row_mask:0xf bank_mask:0xf// 00000000783C: 0A6A0AFA FF01519C
	v_mul_f32_dpp v54, v156, v6 row_newbcast:2 row_mask:0xf bank_mask:0xf// 000000007844: 0A6C0CFA FF01529C
	v_mul_f32_dpp v55, v156, v7 row_newbcast:3 row_mask:0xf bank_mask:0xf// 00000000784C: 0A6E0EFA FF01539C
	v_mul_f32_dpp v56, v156, v8 row_newbcast:4 row_mask:0xf bank_mask:0xf// 000000007854: 0A7010FA FF01549C
	v_mul_f32_dpp v57, v156, v9 row_newbcast:5 row_mask:0xf bank_mask:0xf// 00000000785C: 0A7212FA FF01559C
	v_mul_f32_dpp v58, v156, v10 row_newbcast:6 row_mask:0xf bank_mask:0xf// 000000007864: 0A7414FA FF01569C
	v_mul_f32_dpp v59, v156, v11 row_newbcast:7 row_mask:0xf bank_mask:0xf// 00000000786C: 0A7616FA FF01579C
	v_mul_f32_dpp v60, v156, v12 row_newbcast:8 row_mask:0xf bank_mask:0xf// 000000007874: 0A7818FA FF01589C
	v_mul_f32_dpp v61, v156, v13 row_newbcast:9 row_mask:0xf bank_mask:0xf// 00000000787C: 0A7A1AFA FF01599C
	v_mul_f32_dpp v62, v156, v14 row_newbcast:10 row_mask:0xf bank_mask:0xf// 000000007884: 0A7C1CFA FF015A9C
	v_mul_f32_dpp v63, v156, v15 row_newbcast:11 row_mask:0xf bank_mask:0xf// 00000000788C: 0A7E1EFA FF015B9C
	v_mul_f32_dpp v64, v156, v16 row_newbcast:12 row_mask:0xf bank_mask:0xf// 000000007894: 0A8020FA FF015C9C
	v_mul_f32_dpp v65, v156, v17 row_newbcast:13 row_mask:0xf bank_mask:0xf// 00000000789C: 0A8222FA FF015D9C
	v_mul_f32_dpp v66, v156, v18 row_newbcast:14 row_mask:0xf bank_mask:0xf// 0000000078A4: 0A8424FA FF015E9C
	v_mul_f32_dpp v67, v156, v19 row_newbcast:15 row_mask:0xf bank_mask:0xf// 0000000078AC: 0A8626FA FF015F9C
	v_mul_f32_dpp v68, v156, v20 row_newbcast:0 row_mask:0xf bank_mask:0xf// 0000000078B4: 0A8828FA FF01509C
	v_mul_f32_dpp v69, v156, v21 row_newbcast:1 row_mask:0xf bank_mask:0xf// 0000000078BC: 0A8A2AFA FF01519C
	v_mul_f32_dpp v70, v156, v22 row_newbcast:2 row_mask:0xf bank_mask:0xf// 0000000078C4: 0A8C2CFA FF01529C
	v_mul_f32_dpp v71, v156, v23 row_newbcast:3 row_mask:0xf bank_mask:0xf// 0000000078CC: 0A8E2EFA FF01539C
	v_mul_f32_dpp v72, v156, v24 row_newbcast:4 row_mask:0xf bank_mask:0xf// 0000000078D4: 0A9030FA FF01549C
	v_mul_f32_dpp v73, v156, v25 row_newbcast:5 row_mask:0xf bank_mask:0xf// 0000000078DC: 0A9232FA FF01559C
	v_mul_f32_dpp v74, v156, v26 row_newbcast:6 row_mask:0xf bank_mask:0xf// 0000000078E4: 0A9434FA FF01569C
	v_mul_f32_dpp v75, v156, v27 row_newbcast:7 row_mask:0xf bank_mask:0xf// 0000000078EC: 0A9636FA FF01579C
	v_mul_f32_dpp v76, v156, v28 row_newbcast:8 row_mask:0xf bank_mask:0xf// 0000000078F4: 0A9838FA FF01589C
	v_mul_f32_dpp v77, v156, v29 row_newbcast:9 row_mask:0xf bank_mask:0xf// 0000000078FC: 0A9A3AFA FF01599C
	v_mul_f32_dpp v78, v156, v30 row_newbcast:10 row_mask:0xf bank_mask:0xf// 000000007904: 0A9C3CFA FF015A9C
	v_mul_f32_dpp v79, v156, v31 row_newbcast:11 row_mask:0xf bank_mask:0xf// 00000000790C: 0A9E3EFA FF015B9C
	v_mul_f32_dpp v80, v156, v32 row_newbcast:12 row_mask:0xf bank_mask:0xf// 000000007914: 0AA040FA FF015C9C
	v_mul_f32_dpp v81, v156, v33 row_newbcast:13 row_mask:0xf bank_mask:0xf// 00000000791C: 0AA242FA FF015D9C
	v_mul_f32_dpp v82, v156, v34 row_newbcast:14 row_mask:0xf bank_mask:0xf// 000000007924: 0AA444FA FF015E9C
	v_mul_f32_dpp v83, v156, v35 row_newbcast:15 row_mask:0xf bank_mask:0xf// 00000000792C: 0AA646FA FF015F9C
	v_mul_f32_dpp v84, v166, v36 quad_perm:[0,0,0,0] row_mask:0xf bank_mask:0xf// 000000007934: 0AA848FA FF0000A6
	v_mul_f32_dpp v85, v166, v37 quad_perm:[1,1,1,1] row_mask:0xf bank_mask:0xf// 00000000793C: 0AAA4AFA FF0055A6
	v_mul_f32_dpp v86, v166, v38 quad_perm:[2,2,2,2] row_mask:0xf bank_mask:0xf// 000000007944: 0AAC4CFA FF00AAA6
	v_mul_f32_dpp v87, v166, v39 quad_perm:[3,3,3,3] row_mask:0xf bank_mask:0xf// 00000000794C: 0AAE4EFA FF00FFA6
	v_mul_f32_dpp v88, v167, v40 quad_perm:[0,0,0,0] row_mask:0xf bank_mask:0xf// 000000007954: 0AB050FA FF0000A7
	v_mul_f32_dpp v89, v167, v41 quad_perm:[1,1,1,1] row_mask:0xf bank_mask:0xf// 00000000795C: 0AB252FA FF0055A7
	v_mul_f32_dpp v90, v167, v42 quad_perm:[2,2,2,2] row_mask:0xf bank_mask:0xf// 000000007964: 0AB454FA FF00AAA7
	v_mul_f32_dpp v91, v167, v43 quad_perm:[3,3,3,3] row_mask:0xf bank_mask:0xf// 00000000796C: 0AB656FA FF00FFA7
	v_mov_b32_e32 v190, 0x358637bd                             // 000000007974: 7F7C02FF 358637BD
	v_max3_f32 v190, |v84|, |v85|, v190                        // 00000000797C: D1D303BE 06FAAB54
	v_max3_f32 v190, |v86|, |v87|, v190                        // 000000007984: D1D303BE 06FAAF56
	v_max3_f32 v190, |v88|, |v89|, v190                        // 00000000798C: D1D303BE 06FAB358
	v_max3_f32 v190, |v90|, |v91|, v190                        // 000000007994: D1D303BE 06FAB75A
	v_mov_b32_e32 v189, 0x358637bd                             // 00000000799C: 7F7A02FF 358637BD
	v_max3_f32 v189, |v68|, |v69|, v189                        // 0000000079A4: D1D303BD 06F68B44
	v_max3_f32 v189, |v70|, |v71|, v189                        // 0000000079AC: D1D303BD 06F68F46
	v_max3_f32 v189, |v72|, |v73|, v189                        // 0000000079B4: D1D303BD 06F69348
	v_max3_f32 v189, |v74|, |v75|, v189                        // 0000000079BC: D1D303BD 06F6974A
	v_max3_f32 v189, |v76|, |v77|, v189                        // 0000000079C4: D1D303BD 06F69B4C
	v_max3_f32 v189, |v78|, |v79|, v189                        // 0000000079CC: D1D303BD 06F69F4E
	v_max3_f32 v189, |v80|, |v81|, v189                        // 0000000079D4: D1D303BD 06F6A350
	v_max3_f32 v189, |v82|, |v83|, v189                        // 0000000079DC: D1D303BD 06F6A752
	v_mov_b32_e32 v188, 0x358637bd                             // 0000000079E4: 7F7802FF 358637BD
	v_max3_f32 v188, |v52|, |v53|, v188                        // 0000000079EC: D1D303BC 06F26B34
	v_max3_f32 v188, |v54|, |v55|, v188                        // 0000000079F4: D1D303BC 06F26F36
	v_max3_f32 v188, |v56|, |v57|, v188                        // 0000000079FC: D1D303BC 06F27338
	v_max3_f32 v188, |v58|, |v59|, v188                        // 000000007A04: D1D303BC 06F2773A
	v_max3_f32 v188, |v60|, |v61|, v188                        // 000000007A0C: D1D303BC 06F27B3C
	v_max3_f32 v188, |v62|, |v63|, v188                        // 000000007A14: D1D303BC 06F27F3E
	v_max3_f32 v188, |v64|, |v65|, v188                        // 000000007A1C: D1D303BC 06F28340
	v_max3_f32 v188, |v66|, |v67|, v188                        // 000000007A24: D1D303BC 06F28742
	v_max_f32_dpp v190, v190, v190 row_ror:8 row_mask:0xf bank_mask:0xf// 000000007A2C: 177D7CFA FF0128BE
	ds_bpermute_b32 v172, v212, v188                           // 000000007A34: D87E0000 AC00BCD4
	ds_bpermute_b32 v173, v213, v188                           // 000000007A3C: D87E0000 AD00BCD5
	ds_bpermute_b32 v174, v214, v188                           // 000000007A44: D87E0000 AE00BCD6
	ds_bpermute_b32 v175, v212, v189                           // 000000007A4C: D87E0000 AF00BDD4
	ds_bpermute_b32 v176, v213, v189                           // 000000007A54: D87E0000 B000BDD5
	ds_bpermute_b32 v177, v214, v189                           // 000000007A5C: D87E0000 B100BDD6
	ds_bpermute_b32 v178, v212, v190                           // 000000007A64: D87E0000 B200BED4
	ds_bpermute_b32 v179, v213, v190                           // 000000007A6C: D87E0000 B300BED5
	ds_bpermute_b32 v180, v214, v190                           // 000000007A74: D87E0000 B400BED6
	s_waitcnt lgkmcnt(6)                                       // 000000007A7C: BF8CC67F
	v_max3_f32 v188, v172, v173, v188                          // 000000007A80: D1D300BC 06F35BAC
	v_max_f32_e32 v188, v174, v188                             // 000000007A88: 177979AE
	s_waitcnt lgkmcnt(3)                                       // 000000007A8C: BF8CC37F
	v_max3_f32 v189, v175, v176, v189                          // 000000007A90: D1D300BD 06F761AF
	v_max_f32_e32 v189, v177, v189                             // 000000007A98: 177B7BB1
	s_waitcnt lgkmcnt(0)                                       // 000000007A9C: BF8CC07F
	v_max3_f32 v190, v178, v179, v190                          // 000000007AA0: D1D300BE 06FB67B2
	v_max_f32_e32 v190, v180, v190                             // 000000007AA8: 177D7DB4
	ds_write_b128 v246, v[188:191] offset:4096                 // 000000007AAC: D9BE1000 0000BCF6
	buffer_load_dword v155, v238, s[28:31], 0 offen            // 000000007AB4: E0501000 80079BEE
	v_sub_f32_e32 v200, v194, v197                             // 000000007ABC: 05918BC2
	v_cmp_eq_u32_e64 s[84:85], v225, v194                      // 000000007AC0: D0CA0054 000385E1
	v_cndmask_b32_e64 v200, v200, 0, s[84:85]                  // 000000007AC8: D10000C8 015101C8
	v_mov_b32_e32 v194, v197                                   // 000000007AD0: 7F8403C5
	v_mul_f32_e32 v200, s51, v200                              // 000000007AD4: 0B919033
	v_exp_f32_e32 v200, v200                                   // 000000007AD8: 7F9041C8
	v_sub_f32_e32 v202, v195, v198                             // 000000007ADC: 05958DC3
	v_cmp_eq_u32_e64 s[84:85], v225, v195                      // 000000007AE0: D0CA0054 000387E1
	v_cndmask_b32_e64 v202, v202, 0, s[84:85]                  // 000000007AE8: D10000CA 015101CA
	v_mov_b32_e32 v195, v198                                   // 000000007AF0: 7F8603C6
	v_mul_f32_e32 v202, s51, v202                              // 000000007AF4: 0B959433
	v_exp_f32_e32 v202, v202                                   // 000000007AF8: 7F9441CA
	v_sub_f32_e32 v204, v196, v199                             // 000000007AFC: 05998FC4
	v_cmp_eq_u32_e64 s[84:85], v225, v196                      // 000000007B00: D0CA0054 000389E1
	v_cndmask_b32_e64 v204, v204, 0, s[84:85]                  // 000000007B08: D10000CC 015101CC
	v_mov_b32_e32 v196, v199                                   // 000000007B10: 7F8803C7
	v_mul_f32_e32 v204, s51, v204                              // 000000007B14: 0B999833
	v_exp_f32_e32 v204, v204                                   // 000000007B18: 7F9841CC
	v_mov_b32_e32 v201, v200                                   // 000000007B1C: 7F9203C8
	v_mov_b32_e32 v203, v202                                   // 000000007B20: 7F9603CA
	v_mov_b32_e32 v205, v204                                   // 000000007B24: 7F9A03CC
	s_waitcnt lgkmcnt(0)                                       // 000000007B28: BF8CC07F
	s_barrier                                                  // 000000007B2C: BF8A0000
	buffer_load_dword v157, v239, s[32:35], 0 offen            // 000000007B30: E0501000 80089DEF
	v_mul_f32_e32 v206, v200, v206                             // 000000007B38: 0B9D9DC8
	v_mov_b32_e32 v207, 0                                      // 000000007B3C: 7F9E0280
	v_pk_add_f32 v[206:207], v[4:5], v[206:207]                // 000000007B40: D3B240CE 18039D04
	v_pk_add_f32 v[206:207], v[6:7], v[206:207]                // 000000007B48: D3B240CE 18039D06
	v_pk_add_f32 v[206:207], v[8:9], v[206:207]                // 000000007B50: D3B240CE 18039D08
	v_pk_add_f32 v[206:207], v[10:11], v[206:207]              // 000000007B58: D3B240CE 18039D0A
	v_pk_add_f32 v[206:207], v[12:13], v[206:207]              // 000000007B60: D3B240CE 18039D0C
	v_pk_add_f32 v[206:207], v[14:15], v[206:207]              // 000000007B68: D3B240CE 18039D0E
	v_pk_add_f32 v[206:207], v[16:17], v[206:207]              // 000000007B70: D3B240CE 18039D10
	v_pk_add_f32 v[206:207], v[18:19], v[206:207]              // 000000007B78: D3B240CE 18039D12
	v_add_f32_e32 v206, v207, v206                             // 000000007B80: 039D9DCF
	v_mul_f32_e32 v208, v202, v208                             // 000000007B84: 0BA1A1CA
	v_mov_b32_e32 v209, 0                                      // 000000007B88: 7FA20280
	v_pk_add_f32 v[208:209], v[20:21], v[208:209]              // 000000007B8C: D3B240D0 1803A114
	v_pk_add_f32 v[208:209], v[22:23], v[208:209]              // 000000007B94: D3B240D0 1803A116
	v_pk_add_f32 v[208:209], v[24:25], v[208:209]              // 000000007B9C: D3B240D0 1803A118
	v_pk_add_f32 v[208:209], v[26:27], v[208:209]              // 000000007BA4: D3B240D0 1803A11A
	v_pk_add_f32 v[208:209], v[28:29], v[208:209]              // 000000007BAC: D3B240D0 1803A11C
	v_pk_add_f32 v[208:209], v[30:31], v[208:209]              // 000000007BB4: D3B240D0 1803A11E
	v_pk_add_f32 v[208:209], v[32:33], v[208:209]              // 000000007BBC: D3B240D0 1803A120
	v_pk_add_f32 v[208:209], v[34:35], v[208:209]              // 000000007BC4: D3B240D0 1803A122
	v_add_f32_e32 v208, v209, v208                             // 000000007BCC: 03A1A1D1
	v_mul_f32_e32 v210, v204, v210                             // 000000007BD0: 0BA5A5CC
	v_mov_b32_e32 v211, 0                                      // 000000007BD4: 7FA60280
	v_pk_add_f32 v[210:211], v[36:37], v[210:211]              // 000000007BD8: D3B240D2 1803A524
	v_pk_add_f32 v[210:211], v[38:39], v[210:211]              // 000000007BE0: D3B240D2 1803A526
	v_pk_add_f32 v[210:211], v[40:41], v[210:211]              // 000000007BE8: D3B240D2 1803A528
	v_pk_add_f32 v[210:211], v[42:43], v[210:211]              // 000000007BF0: D3B240D2 1803A52A
	v_add_f32_e32 v210, v211, v210                             // 000000007BF8: 03A5A5D3
	ds_read_b128 v[172:175], v247 offset:4096                  // 000000007BFC: D9FE1000 AC0000F7
	ds_read_b128 v[176:179], v247 offset:4352                  // 000000007C04: D9FE1100 B00000F7
	ds_read_b128 v[180:183], v247 offset:4608                  // 000000007C0C: D9FE1200 B40000F7
	ds_read_b128 v[184:187], v247 offset:4864                  // 000000007C14: D9FE1300 B80000F7
	s_waitcnt lgkmcnt(0)                                       // 000000007C1C: BF8CC07F
	v_max3_f32 v188, v172, v176, v188                          // 000000007C20: D1D300BC 06F361AC
	v_max3_f32 v189, v173, v177, v189                          // 000000007C28: D1D300BD 06F763AD
	v_max3_f32 v190, v174, v178, v190                          // 000000007C30: D1D300BE 06FB65AE
	v_max3_f32 v188, v180, v184, v188                          // 000000007C38: D1D300BC 06F371B4
	v_max3_f32 v189, v181, v185, v189                          // 000000007C40: D1D300BD 06F773B5
	v_max3_f32 v190, v182, v186, v190                          // 000000007C48: D1D300BE 06FB75B6
	v_rcp_f32_e32 v188, v188                                   // 000000007C50: 7F7845BC
	v_rcp_f32_e32 v189, v189                                   // 000000007C54: 7F7A45BD
	v_rcp_f32_e32 v190, v190                                   // 000000007C58: 7F7C45BE
	v_mul_f32_e32 v188, 0x43700000, v188                       // 000000007C5C: 0B7978FF 43700000
	v_mul_f32_e32 v189, 0x43700000, v189                       // 000000007C64: 0B7B7AFF 43700000
	v_mul_f32_e32 v190, 0x43700000, v190                       // 000000007C6C: 0B7D7CFF 43700000
	v_mov_b32_e32 v192, v190                                   // 000000007C74: 7F8003BE
	v_mov_b32_e32 v193, v190                                   // 000000007C78: 7F8203BE
	v_mov_b32_e32 v190, v189                                   // 000000007C7C: 7F7C03BD
	v_mov_b32_e32 v191, v189                                   // 000000007C80: 7F7E03BD
	v_mov_b32_e32 v189, v188                                   // 000000007C84: 7F7A03BC
	v_pk_mul_f32 v[4:5], v[188:189], v[52:53]                  // 000000007C88: D3B14004 180269BC
	v_pk_mul_f32 v[6:7], v[188:189], v[54:55]                  // 000000007C90: D3B14006 18026DBC
	v_pk_mul_f32 v[8:9], v[188:189], v[56:57]                  // 000000007C98: D3B14008 180271BC
	v_pk_mul_f32 v[10:11], v[188:189], v[58:59]                // 000000007CA0: D3B1400A 180275BC
	v_pk_mul_f32 v[12:13], v[188:189], v[60:61]                // 000000007CA8: D3B1400C 180279BC
	v_pk_mul_f32 v[14:15], v[188:189], v[62:63]                // 000000007CB0: D3B1400E 18027DBC
	v_pk_mul_f32 v[16:17], v[188:189], v[64:65]                // 000000007CB8: D3B14010 180281BC
	v_pk_mul_f32 v[18:19], v[188:189], v[66:67]                // 000000007CC0: D3B14012 180285BC
	v_pk_mul_f32 v[20:21], v[190:191], v[68:69]                // 000000007CC8: D3B14014 180289BE
	v_pk_mul_f32 v[22:23], v[190:191], v[70:71]                // 000000007CD0: D3B14016 18028DBE
	v_pk_mul_f32 v[24:25], v[190:191], v[72:73]                // 000000007CD8: D3B14018 180291BE
	v_pk_mul_f32 v[26:27], v[190:191], v[74:75]                // 000000007CE0: D3B1401A 180295BE
	v_pk_mul_f32 v[28:29], v[190:191], v[76:77]                // 000000007CE8: D3B1401C 180299BE
	v_pk_mul_f32 v[30:31], v[190:191], v[78:79]                // 000000007CF0: D3B1401E 18029DBE
	v_pk_mul_f32 v[32:33], v[190:191], v[80:81]                // 000000007CF8: D3B14020 1802A1BE
	v_pk_mul_f32 v[34:35], v[190:191], v[82:83]                // 000000007D00: D3B14022 1802A5BE
	v_pk_mul_f32 v[36:37], v[192:193], v[84:85]                // 000000007D08: D3B14024 1802A9C0
	v_pk_mul_f32 v[38:39], v[192:193], v[86:87]                // 000000007D10: D3B14026 1802ADC0
	v_pk_mul_f32 v[40:41], v[192:193], v[88:89]                // 000000007D18: D3B14028 1802B1C0
	v_pk_mul_f32 v[42:43], v[192:193], v[90:91]                // 000000007D20: D3B1402A 1802B5C0
	v_cvt_pk_fp8_f32 v4, v4, v5                                // 000000007D28: D2A20004 00020B04
	v_cvt_pk_fp8_f32 v4, v6, v7 op_sel:[0,0,1]                 // 000000007D30: D2A24004 00020F06
	v_cvt_pk_fp8_f32 v5, v8, v9                                // 000000007D38: D2A20005 00021308
	v_cvt_pk_fp8_f32 v5, v10, v11 op_sel:[0,0,1]               // 000000007D40: D2A24005 0002170A
	v_cvt_pk_fp8_f32 v6, v12, v13                              // 000000007D48: D2A20006 00021B0C
	v_cvt_pk_fp8_f32 v6, v14, v15 op_sel:[0,0,1]               // 000000007D50: D2A24006 00021F0E
	v_cvt_pk_fp8_f32 v7, v16, v17                              // 000000007D58: D2A20007 00022310
	v_cvt_pk_fp8_f32 v7, v18, v19 op_sel:[0,0,1]               // 000000007D60: D2A24007 00022712
	v_cvt_pk_fp8_f32 v8, v20, v21                              // 000000007D68: D2A20008 00022B14
	v_cvt_pk_fp8_f32 v8, v22, v23 op_sel:[0,0,1]               // 000000007D70: D2A24008 00022F16
	v_cvt_pk_fp8_f32 v9, v24, v25                              // 000000007D78: D2A20009 00023318
	v_cvt_pk_fp8_f32 v9, v26, v27 op_sel:[0,0,1]               // 000000007D80: D2A24009 0002371A
	v_cvt_pk_fp8_f32 v10, v28, v29                             // 000000007D88: D2A2000A 00023B1C
	v_cvt_pk_fp8_f32 v10, v30, v31 op_sel:[0,0,1]              // 000000007D90: D2A2400A 00023F1E
	v_cvt_pk_fp8_f32 v11, v32, v33                             // 000000007D98: D2A2000B 00024320
	v_cvt_pk_fp8_f32 v11, v34, v35 op_sel:[0,0,1]              // 000000007DA0: D2A2400B 00024722
	v_cvt_pk_fp8_f32 v12, v36, v37                             // 000000007DA8: D2A2000C 00024B24
	v_cvt_pk_fp8_f32 v12, v38, v39 op_sel:[0,0,1]              // 000000007DB0: D2A2400C 00024F26
	v_cvt_pk_fp8_f32 v13, v40, v41                             // 000000007DB8: D2A2000D 00025328
	v_cvt_pk_fp8_f32 v13, v42, v43 op_sel:[0,0,1]              // 000000007DC0: D2A2400D 0002572A
	v_mov_b32_dpp v14, v12 row_shl:8 row_mask:0xf bank_mask:0xf bound_ctrl:1// 000000007DC8: 7E1C02FA FF09080C
	v_and_b32_e32 v12, v12, v224                               // 000000007DD0: 2619C10C
	v_mov_b32_dpp v15, v13 row_shl:8 row_mask:0xf bank_mask:0xf bound_ctrl:1// 000000007DD4: 7E1E02FA FF09080D
	v_and_b32_e32 v13, v13, v224                               // 000000007DDC: 261BC10D
	ds_write_b32 v248, v4 offset:8192                          // 000000007DE0: D81A2000 000004F8
	ds_write_b32 v248, v5 offset:9216                          // 000000007DE8: D81A2400 000005F8
	ds_write_b32 v248, v6 offset:10240                         // 000000007DF0: D81A2800 000006F8
	ds_write_b32 v248, v7 offset:11264                         // 000000007DF8: D81A2C00 000007F8
	ds_write_b32 v248, v8 offset:12288                         // 000000007E00: D81A3000 000008F8
	ds_write_b32 v248, v9 offset:13312                         // 000000007E08: D81A3400 000009F8
	ds_write_b32 v248, v10 offset:14336                        // 000000007E10: D81A3800 00000AF8
	ds_write_b32 v248, v11 offset:15360                        // 000000007E18: D81A3C00 00000BF8
	ds_write_b32 v248, v12 offset:16384                        // 000000007E20: D81A4000 00000CF8
	ds_write_b32 v248, v13 offset:17408                        // 000000007E28: D81A4400 00000DF8
	ds_write_b32 v248, v14 offset:18432                        // 000000007E30: D81A4800 00000EF8
	ds_write_b32 v248, v15 offset:19456                        // 000000007E38: D81A4C00 00000FF8
	v_rcp_f32_e32 v158, v188                                   // 000000007E40: 7F3C45BC
	v_rcp_f32_e32 v160, v190                                   // 000000007E44: 7F4045BE
	v_rcp_f32_e32 v162, v192                                   // 000000007E48: 7F4445C0
	v_mov_b32_e32 v159, v158                                   // 000000007E4C: 7F3E039E
	v_mov_b32_e32 v161, v160                                   // 000000007E50: 7F4203A0
	v_mov_b32_e32 v163, v162                                   // 000000007E54: 7F4603A2
	v_pk_add_f32 v[124:125], v[124:125], v[100:101]            // 000000007E58: D3B2407C 1802C97C
	v_pk_add_f32 v[126:127], v[126:127], v[102:103]            // 000000007E60: D3B2407E 1802CD7E
	v_pk_add_f32 v[128:129], v[128:129], v[104:105]            // 000000007E68: D3B24080 1802D180
	v_pk_add_f32 v[130:131], v[130:131], v[106:107]            // 000000007E70: D3B24082 1802D582
	v_pk_add_f32 v[132:133], v[132:133], v[108:109]            // 000000007E78: D3B24084 1802D984
	v_pk_add_f32 v[134:135], v[134:135], v[110:111]            // 000000007E80: D3B24086 1802DD86
	v_pk_add_f32 v[136:137], v[136:137], v[112:113]            // 000000007E88: D3B24088 1802E188
	v_pk_add_f32 v[138:139], v[138:139], v[114:115]            // 000000007E90: D3B2408A 1802E58A
	v_pk_add_f32 v[140:141], v[140:141], v[116:117]            // 000000007E98: D3B2408C 1802E98C
	v_pk_add_f32 v[142:143], v[142:143], v[118:119]            // 000000007EA0: D3B2408E 1802ED8E
	v_pk_add_f32 v[144:145], v[144:145], v[120:121]            // 000000007EA8: D3B24090 1802F190
	v_pk_add_f32 v[146:147], v[146:147], v[122:123]            // 000000007EB0: D3B24092 1802F592
	s_waitcnt lgkmcnt(0)                                       // 000000007EB8: BF8CC07F
	s_barrier                                                  // 000000007EBC: BF8A0000
	ds_read_b128 v[4:7], v249 offset:8192                      // 000000007EC0: D9FE2000 040000F9
	ds_read_b128 v[8:11], v249 offset:9216                     // 000000007EC8: D9FE2400 080000F9
	ds_read_b128 v[12:15], v249 offset:10240                   // 000000007ED0: D9FE2800 0C0000F9
	ds_read_b128 v[16:19], v249 offset:11264                   // 000000007ED8: D9FE2C00 100000F9
	ds_read_b128 v[20:23], v249 offset:12288                   // 000000007EE0: D9FE3000 140000F9
	ds_read_b128 v[24:27], v249 offset:13312                   // 000000007EE8: D9FE3400 180000F9
	ds_read_b128 v[28:31], v249 offset:14336                   // 000000007EF0: D9FE3800 1C0000F9
	ds_read_b128 v[32:35], v249 offset:15360                   // 000000007EF8: D9FE3C00 200000F9
	ds_read_b128 v[36:39], v249 offset:16384                   // 000000007F00: D9FE4000 240000F9
	ds_read_b128 v[40:43], v249 offset:17408                   // 000000007F08: D9FE4400 280000F9
	ds_read_b128 v[44:47], v249 offset:18432                   // 000000007F10: D9FE4800 2C0000F9
	ds_read_b128 v[48:51], v249 offset:19456                   // 000000007F18: D9FE4C00 300000F9
	s_waitcnt vmcnt(10)                                        // 000000007F20: BF8C0F7A
	s_waitcnt lgkmcnt(11)                                      // 000000007F24: BF8CCB7F
	v_mfma_f32_16x16x32_fp8_fp8 v[100:103], a[88:89], v[4:5], 0// 000000007F28: D3F30064 0A020958
	s_addk_i32 s62, 0x1                                        // 000000007F30: B73E0001
	v_mfma_f32_16x16x32_fp8_fp8 v[104:107], a[104:105], v[4:5], 0// 000000007F34: D3F30068 0A020968
	s_cmp_lt_u32 s62, s52                                      // 000000007F3C: BF0A343E
	s_cselect_b32 s63, 4, 0                                    // 000000007F40: 853F8084
	v_mfma_f32_16x16x32_fp8_fp8 v[100:103], a[90:91], v[6:7], v[100:103]// 000000007F44: D3F30064 0D920D5A
	buffer_load_dwordx4 a[120:123], v234, s[16:19], 0 offen    // 000000007F4C: E05C1000 808478EA
	v_mfma_f32_16x16x32_fp8_fp8 v[104:107], a[106:107], v[6:7], v[104:107]// 000000007F54: D3F30068 0DA20D6A
	s_add_u32 s20, s20, s63                                    // 000000007F5C: 80143F14
	s_addc_u32 s21, s21, 0                                     // 000000007F60: 82158015
	s_waitcnt lgkmcnt(10)                                      // 000000007F64: BF8CCA7F
	v_mfma_f32_16x16x32_fp8_fp8 v[100:103], a[92:93], v[8:9], v[100:103]// 000000007F68: D3F30064 0D92115C
	v_mfma_f32_16x16x32_fp8_fp8 v[104:107], a[108:109], v[8:9], v[104:107]// 000000007F70: D3F30068 0DA2116C
	v_mfma_f32_16x16x32_fp8_fp8 v[100:103], a[94:95], v[10:11], v[100:103]// 000000007F78: D3F30064 0D92155E
	buffer_load_dwordx4 a[124:127], v235, s[16:19], 0 offen    // 000000007F80: E05C1000 80847CEB
	v_mfma_f32_16x16x32_fp8_fp8 v[104:107], a[110:111], v[10:11], v[104:107]// 000000007F88: D3F30068 0DA2156E
	s_waitcnt lgkmcnt(9)                                       // 000000007F90: BF8CC97F
	v_mfma_f32_16x16x32_fp8_fp8 v[100:103], a[96:97], v[12:13], v[100:103]// 000000007F94: D3F30064 0D921960
	v_mfma_f32_16x16x32_fp8_fp8 v[104:107], a[112:113], v[12:13], v[104:107]// 000000007F9C: D3F30068 0DA21970
	v_mfma_f32_16x16x32_fp8_fp8 v[100:103], a[98:99], v[14:15], v[100:103]// 000000007FA4: D3F30064 0D921D62
	buffer_load_dwordx4 a[128:131], v236, s[16:19], 0 offen    // 000000007FAC: E05C1000 808480EC
	v_mfma_f32_16x16x32_fp8_fp8 v[104:107], a[114:115], v[14:15], v[104:107]// 000000007FB4: D3F30068 0DA21D72
	s_waitcnt lgkmcnt(8)                                       // 000000007FBC: BF8CC87F
	v_mfma_f32_16x16x32_fp8_fp8 v[100:103], a[100:101], v[16:17], v[100:103]// 000000007FC0: D3F30064 0D922164
	v_mfma_f32_16x16x32_fp8_fp8 v[104:107], a[116:117], v[16:17], v[104:107]// 000000007FC8: D3F30068 0DA22174
	v_mfma_f32_16x16x32_fp8_fp8 v[100:103], a[102:103], v[18:19], v[100:103]// 000000007FD0: D3F30064 0D922566
	buffer_load_dwordx4 a[132:135], v237, s[16:19], 0 offen    // 000000007FD8: E05C1000 808484ED
	v_mfma_f32_16x16x32_fp8_fp8 v[104:107], a[118:119], v[18:19], v[104:107]// 000000007FE0: D3F30068 0DA22576
	s_waitcnt lgkmcnt(7)                                       // 000000007FE8: BF8CC77F
	v_mfma_f32_16x16x32_fp8_fp8 v[108:111], a[88:89], v[20:21], 0// 000000007FEC: D3F3006C 0A022958
	v_mfma_f32_16x16x32_fp8_fp8 v[112:115], a[104:105], v[20:21], 0// 000000007FF4: D3F30070 0A022968
	v_mfma_f32_16x16x32_fp8_fp8 v[108:111], a[90:91], v[22:23], v[108:111]// 000000007FFC: D3F3006C 0DB22D5A
	buffer_load_dwordx4 a[136:139], v234, s[16:19], 0 offen offset:1024// 000000008004: E05C1400 808488EA
	v_mfma_f32_16x16x32_fp8_fp8 v[112:115], a[106:107], v[22:23], v[112:115]// 00000000800C: D3F30070 0DC22D6A
	s_waitcnt lgkmcnt(6)                                       // 000000008014: BF8CC67F
	v_mfma_f32_16x16x32_fp8_fp8 v[108:111], a[92:93], v[24:25], v[108:111]// 000000008018: D3F3006C 0DB2315C
	v_mfma_f32_16x16x32_fp8_fp8 v[112:115], a[108:109], v[24:25], v[112:115]// 000000008020: D3F30070 0DC2316C
	v_mfma_f32_16x16x32_fp8_fp8 v[108:111], a[94:95], v[26:27], v[108:111]// 000000008028: D3F3006C 0DB2355E
	buffer_load_dwordx4 a[140:143], v235, s[16:19], 0 offen offset:1024// 000000008030: E05C1400 80848CEB
	v_mfma_f32_16x16x32_fp8_fp8 v[112:115], a[110:111], v[26:27], v[112:115]// 000000008038: D3F30070 0DC2356E
	s_waitcnt lgkmcnt(5)                                       // 000000008040: BF8CC57F
	v_mfma_f32_16x16x32_fp8_fp8 v[108:111], a[96:97], v[28:29], v[108:111]// 000000008044: D3F3006C 0DB23960
	v_mfma_f32_16x16x32_fp8_fp8 v[112:115], a[112:113], v[28:29], v[112:115]// 00000000804C: D3F30070 0DC23970
	v_mfma_f32_16x16x32_fp8_fp8 v[108:111], a[98:99], v[30:31], v[108:111]// 000000008054: D3F3006C 0DB23D62
	buffer_load_dwordx4 a[144:147], v236, s[16:19], 0 offen offset:1024// 00000000805C: E05C1400 808490EC
	v_mfma_f32_16x16x32_fp8_fp8 v[112:115], a[114:115], v[30:31], v[112:115]// 000000008064: D3F30070 0DC23D72
	s_waitcnt lgkmcnt(4)                                       // 00000000806C: BF8CC47F
	v_mfma_f32_16x16x32_fp8_fp8 v[108:111], a[100:101], v[32:33], v[108:111]// 000000008070: D3F3006C 0DB24164
	v_mfma_f32_16x16x32_fp8_fp8 v[112:115], a[116:117], v[32:33], v[112:115]// 000000008078: D3F30070 0DC24174
	v_mfma_f32_16x16x32_fp8_fp8 v[108:111], a[102:103], v[34:35], v[108:111]// 000000008080: D3F3006C 0DB24566
	buffer_load_dwordx4 a[148:151], v237, s[16:19], 0 offen offset:1024// 000000008088: E05C1400 808494ED
	v_mfma_f32_16x16x32_fp8_fp8 v[112:115], a[118:119], v[34:35], v[112:115]// 000000008090: D3F30070 0DC24576
	s_waitcnt lgkmcnt(3)                                       // 000000008098: BF8CC37F
	v_mfma_f32_16x16x32_fp8_fp8 v[116:119], a[88:89], v[36:37], 0// 00000000809C: D3F30074 0A024958
	v_mfma_f32_16x16x32_fp8_fp8 v[120:123], a[104:105], v[36:37], 0// 0000000080A4: D3F30078 0A024968
	v_mfma_f32_16x16x32_fp8_fp8 v[116:119], a[90:91], v[38:39], v[116:119]// 0000000080AC: D3F30074 0DD24D5A
	v_mfma_f32_16x16x32_fp8_fp8 v[120:123], a[106:107], v[38:39], v[120:123]// 0000000080B4: D3F30078 0DE24D6A
	s_waitcnt lgkmcnt(2)                                       // 0000000080BC: BF8CC27F
	v_mfma_f32_16x16x32_fp8_fp8 v[116:119], a[92:93], v[40:41], v[116:119]// 0000000080C0: D3F30074 0DD2515C
	v_mfma_f32_16x16x32_fp8_fp8 v[120:123], a[108:109], v[40:41], v[120:123]// 0000000080C8: D3F30078 0DE2516C
	v_mfma_f32_16x16x32_fp8_fp8 v[116:119], a[94:95], v[42:43], v[116:119]// 0000000080D0: D3F30074 0DD2555E
	v_mfma_f32_16x16x32_fp8_fp8 v[120:123], a[110:111], v[42:43], v[120:123]// 0000000080D8: D3F30078 0DE2556E
	s_waitcnt lgkmcnt(1)                                       // 0000000080E0: BF8CC17F
	v_mfma_f32_16x16x32_fp8_fp8 v[116:119], a[96:97], v[44:45], v[116:119]// 0000000080E4: D3F30074 0DD25960
	v_mfma_f32_16x16x32_fp8_fp8 v[120:123], a[112:113], v[44:45], v[120:123]// 0000000080EC: D3F30078 0DE25970
	v_mfma_f32_16x16x32_fp8_fp8 v[116:119], a[98:99], v[46:47], v[116:119]// 0000000080F4: D3F30074 0DD25D62
	v_mfma_f32_16x16x32_fp8_fp8 v[120:123], a[114:115], v[46:47], v[120:123]// 0000000080FC: D3F30078 0DE25D72
	s_waitcnt lgkmcnt(0)                                       // 000000008104: BF8CC07F
	v_mfma_f32_16x16x32_fp8_fp8 v[116:119], a[100:101], v[48:49], v[116:119]// 000000008108: D3F30074 0DD26164
	v_mfma_f32_16x16x32_fp8_fp8 v[120:123], a[116:117], v[48:49], v[120:123]// 000000008110: D3F30078 0DE26174
	v_mfma_f32_16x16x32_fp8_fp8 v[116:119], a[102:103], v[50:51], v[116:119]// 000000008118: D3F30074 0DD26566
	v_mfma_f32_16x16x32_fp8_fp8 v[120:123], a[118:119], v[50:51], v[120:123]// 000000008120: D3F30078 0DE26576
	s_load_dword s61, s[20:21], 0x0                            // 000000008128: C0020F4A 00000000
	s_addk_i32 s49, 0x100                                      // 000000008130: B7310100
	s_cmp_lt_i32 s49, s50                                      // 000000008134: BF043231
	s_cbranch_scc0 label_2A2A                                  // 000000008138: BF84121B
	s_waitcnt vmcnt(10)                                        // 00000000813C: BF8C0F7A
	v_mfma_f32_16x16x32_fp8_fp8 v[4:7], a[56:57], a[0:1], 0    // 000000008140: D3F30004 1A020138
	s_add_u32 s12, s76, s64                                    // 000000008148: 800C404C
	s_addc_u32 s13, s77, 0                                     // 00000000814C: 820D804D
	v_mfma_f32_16x16x32_fp8_fp8 v[4:7], a[58:59], a[2:3], v[4:7]// 000000008150: D3F30004 1C12053A
	s_add_u32 s16, s78, s65                                    // 000000008158: 8010414E
	s_addc_u32 s17, s79, 0                                     // 00000000815C: 8211804F
	v_mfma_f32_16x16x32_fp8_fp8 v[4:7], a[60:61], a[4:5], v[4:7]// 000000008160: D3F30004 1C12093C
	buffer_load_dwordx4 a[24:27], v232, s[12:15], 0 offen      // 000000008168: E05C1000 808318E8
	v_mfma_f32_16x16x32_fp8_fp8 v[4:7], a[62:63], a[6:7], v[4:7]// 000000008170: D3F30004 1C120D3E
	s_add_u32 s28, s80, s66                                    // 000000008178: 801C4250
	s_addc_u32 s29, s81, 0                                     // 00000000817C: 821D8051
	v_mfma_f32_16x16x32_fp8_fp8 v[8:11], a[64:65], a[0:1], 0   // 000000008180: D3F30008 1A020140
	s_add_u32 s32, s82, s66                                    // 000000008188: 80204252
	s_addc_u32 s33, s83, 0                                     // 00000000818C: 82218053
	v_mfma_f32_16x16x32_fp8_fp8 v[8:11], a[66:67], a[2:3], v[8:11]// 000000008190: D3F30008 1C220542
	s_add_u32 s64, s64, 0x1000                                 // 000000008198: 8040FF40 00001000
	s_add_u32 s65, s65, 0x8000                                 // 0000000081A0: 8041FF41 00008000
	v_mfma_f32_16x16x32_fp8_fp8 v[8:11], a[68:69], a[4:5], v[8:11]// 0000000081A8: D3F30008 1C220944
	buffer_load_dwordx4 a[28:31], v233, s[12:15], 0 offen      // 0000000081B0: E05C1000 80831CE9
	v_mfma_f32_16x16x32_fp8_fp8 v[8:11], a[70:71], a[6:7], v[8:11]// 0000000081B8: D3F30008 1C220D46
	s_add_u32 s66, s66, 0x400                                  // 0000000081C0: 8042FF42 00000400
	v_mfma_f32_16x16x32_fp8_fp8 v[12:15], a[72:73], a[0:1], 0  // 0000000081C8: D3F3000C 1A020148
	v_mfma_f32_16x16x32_fp8_fp8 v[12:15], a[74:75], a[2:3], v[12:15]// 0000000081D0: D3F3000C 1C32054A
	v_mfma_f32_16x16x32_fp8_fp8 v[12:15], a[76:77], a[4:5], v[12:15]// 0000000081D8: D3F3000C 1C32094C
	buffer_load_dwordx4 a[32:35], v232, s[12:15], 0 offen offset:1024// 0000000081E0: E05C1400 808320E8
	v_mfma_f32_16x16x32_fp8_fp8 v[12:15], a[78:79], a[6:7], v[12:15]// 0000000081E8: D3F3000C 1C320D4E
	v_mfma_f32_16x16x32_fp8_fp8 v[16:19], a[80:81], a[0:1], 0  // 0000000081F0: D3F30010 1A020150
	v_mfma_f32_16x16x32_fp8_fp8 v[16:19], a[82:83], a[2:3], v[16:19]// 0000000081F8: D3F30010 1C420552
	v_mfma_f32_16x16x32_fp8_fp8 v[16:19], a[84:85], a[4:5], v[16:19]// 000000008200: D3F30010 1C420954
	buffer_load_dwordx4 a[36:39], v233, s[12:15], 0 offen offset:1024// 000000008208: E05C1400 808324E9
	v_mfma_f32_16x16x32_fp8_fp8 v[16:19], a[86:87], a[6:7], v[16:19]// 000000008210: D3F30010 1C420D56
	v_mfma_f32_16x16x32_fp8_fp8 v[20:23], a[56:57], a[8:9], 0  // 000000008218: D3F30014 1A021138
	v_mfma_f32_16x16x32_fp8_fp8 v[20:23], a[58:59], a[10:11], v[20:23]// 000000008220: D3F30014 1C52153A
	v_mfma_f32_16x16x32_fp8_fp8 v[20:23], a[60:61], a[12:13], v[20:23]// 000000008228: D3F30014 1C52193C
	buffer_load_dwordx4 a[40:43], v232, s[12:15], 0 offen offset:2048// 000000008230: E05C1800 808328E8
	v_mfma_f32_16x16x32_fp8_fp8 v[20:23], a[62:63], a[14:15], v[20:23]// 000000008238: D3F30014 1C521D3E
	v_mfma_f32_16x16x32_fp8_fp8 v[24:27], a[64:65], a[8:9], 0  // 000000008240: D3F30018 1A021140
	v_mfma_f32_16x16x32_fp8_fp8 v[24:27], a[66:67], a[10:11], v[24:27]// 000000008248: D3F30018 1C621542
	v_mfma_f32_16x16x32_fp8_fp8 v[24:27], a[68:69], a[12:13], v[24:27]// 000000008250: D3F30018 1C621944
	buffer_load_dwordx4 a[44:47], v233, s[12:15], 0 offen offset:2048// 000000008258: E05C1800 80832CE9
	v_mfma_f32_16x16x32_fp8_fp8 v[24:27], a[70:71], a[14:15], v[24:27]// 000000008260: D3F30018 1C621D46
	v_mfma_f32_16x16x32_fp8_fp8 v[28:31], a[72:73], a[8:9], 0  // 000000008268: D3F3001C 1A021148
	v_mfma_f32_16x16x32_fp8_fp8 v[28:31], a[74:75], a[10:11], v[28:31]// 000000008270: D3F3001C 1C72154A
	v_mfma_f32_16x16x32_fp8_fp8 v[28:31], a[76:77], a[12:13], v[28:31]// 000000008278: D3F3001C 1C72194C
	buffer_load_dwordx4 a[48:51], v232, s[12:15], 0 offen offset:3072// 000000008280: E05C1C00 808330E8
	v_mfma_f32_16x16x32_fp8_fp8 v[28:31], a[78:79], a[14:15], v[28:31]// 000000008288: D3F3001C 1C721D4E
	v_mfma_f32_16x16x32_fp8_fp8 v[32:35], a[80:81], a[8:9], 0  // 000000008290: D3F30020 1A021150
	v_mfma_f32_16x16x32_fp8_fp8 v[32:35], a[82:83], a[10:11], v[32:35]// 000000008298: D3F30020 1C821552
	v_mfma_f32_16x16x32_fp8_fp8 v[32:35], a[84:85], a[12:13], v[32:35]// 0000000082A0: D3F30020 1C821954
	buffer_load_dwordx4 a[52:55], v233, s[12:15], 0 offen offset:3072// 0000000082A8: E05C1C00 808334E9
	v_mfma_f32_16x16x32_fp8_fp8 v[32:35], a[86:87], a[14:15], v[32:35]// 0000000082B0: D3F30020 1C821D56
	v_mfma_f32_16x16x32_fp8_fp8 v[36:39], a[56:57], a[16:17], 0// 0000000082B8: D3F30024 1A022138
	v_mfma_f32_16x16x32_fp8_fp8 v[36:39], a[58:59], a[18:19], v[36:39]// 0000000082C0: D3F30024 1C92253A
	v_mfma_f32_16x16x32_fp8_fp8 v[36:39], a[60:61], a[20:21], v[36:39]// 0000000082C8: D3F30024 1C92293C
	v_mfma_f32_16x16x32_fp8_fp8 v[36:39], a[62:63], a[22:23], v[36:39]// 0000000082D0: D3F30024 1C922D3E
	v_mfma_f32_16x16x32_fp8_fp8 v[40:43], a[64:65], a[16:17], 0// 0000000082D8: D3F30028 1A022140
	v_mfma_f32_16x16x32_fp8_fp8 v[40:43], a[66:67], a[18:19], v[40:43]// 0000000082E0: D3F30028 1CA22542
	v_mfma_f32_16x16x32_fp8_fp8 v[40:43], a[68:69], a[20:21], v[40:43]// 0000000082E8: D3F30028 1CA22944
	v_mfma_f32_16x16x32_fp8_fp8 v[40:43], a[70:71], a[22:23], v[40:43]// 0000000082F0: D3F30028 1CA22D46
	v_mfma_f32_16x16x32_fp8_fp8 v[44:47], a[72:73], a[16:17], 0// 0000000082F8: D3F3002C 1A022148
	v_mfma_f32_16x16x32_fp8_fp8 v[44:47], a[74:75], a[18:19], v[44:47]// 000000008300: D3F3002C 1CB2254A
	v_mfma_f32_16x16x32_fp8_fp8 v[44:47], a[76:77], a[20:21], v[44:47]// 000000008308: D3F3002C 1CB2294C
	v_mfma_f32_16x16x32_fp8_fp8 v[44:47], a[78:79], a[22:23], v[44:47]// 000000008310: D3F3002C 1CB22D4E
	v_mfma_f32_16x16x32_fp8_fp8 v[48:51], a[80:81], a[16:17], 0// 000000008318: D3F30030 1A022150
	v_mfma_f32_16x16x32_fp8_fp8 v[48:51], a[82:83], a[18:19], v[48:51]// 000000008320: D3F30030 1CC22552
	v_mfma_f32_16x16x32_fp8_fp8 v[48:51], a[84:85], a[20:21], v[48:51]// 000000008328: D3F30030 1CC22954
	v_mfma_f32_16x16x32_fp8_fp8 v[48:51], a[86:87], a[22:23], v[48:51]// 000000008330: D3F30030 1CC22D56
	s_waitcnt vmcnt(16)                                        // 000000008338: BF8C4F70
	v_or_b32_dpp v36, v44, v36 row_shr:8 row_mask:0xf bank_mask:0xf bound_ctrl:1// 00000000833C: 284848FA FF09182C
	v_or_b32_dpp v37, v45, v37 row_shr:8 row_mask:0xf bank_mask:0xf bound_ctrl:1// 000000008344: 284A4AFA FF09182D
	v_or_b32_dpp v38, v46, v38 row_shr:8 row_mask:0xf bank_mask:0xf bound_ctrl:1// 00000000834C: 284C4CFA FF09182E
	v_or_b32_dpp v39, v47, v39 row_shr:8 row_mask:0xf bank_mask:0xf bound_ctrl:1// 000000008354: 284E4EFA FF09182F
	v_or_b32_dpp v40, v48, v40 row_shr:8 row_mask:0xf bank_mask:0xf bound_ctrl:1// 00000000835C: 285050FA FF091830
	v_or_b32_dpp v41, v49, v41 row_shr:8 row_mask:0xf bank_mask:0xf bound_ctrl:1// 000000008364: 285252FA FF091831
	v_or_b32_dpp v42, v50, v42 row_shr:8 row_mask:0xf bank_mask:0xf bound_ctrl:1// 00000000836C: 285454FA FF091832
	v_or_b32_dpp v43, v51, v43 row_shr:8 row_mask:0xf bank_mask:0xf bound_ctrl:1// 000000008374: 285656FA FF091833
	v_mov_b32_dpp v168, v155 row_shr:4 row_mask:0xf bank_mask:0xf// 00000000837C: 7F5002FA FF01149B
	v_mov_b32_dpp v169, v155 row_shl:4 row_mask:0xf bank_mask:0xf// 000000008384: 7F5202FA FF01049B
	v_cndmask_b32_e64 v164, v155, v168, s[90:91]               // 00000000838C: D10000A4 016B519B
	v_cndmask_b32_e64 v165, v169, v155, s[90:91]               // 000000008394: D10000A5 016B37A9
	v_mov_b32_dpp v168, v157 row_shr:4 row_mask:0xf bank_mask:0xf// 00000000839C: 7F5002FA FF01149D
	v_mov_b32_dpp v169, v157 row_shl:4 row_mask:0xf bank_mask:0xf// 0000000083A4: 7F5202FA FF01049D
	v_cndmask_b32_e64 v166, v157, v168, s[90:91]               // 0000000083AC: D10000A6 016B519D
	v_cndmask_b32_e64 v167, v169, v157, s[90:91]               // 0000000083B4: D10000A7 016B3BA9
	v_pk_mul_f32 v[4:5], v[148:149], v[4:5]                    // 0000000083BC: D3B14004 18020994
	v_pk_mul_f32 v[6:7], v[148:149], v[6:7]                    // 0000000083C4: D3B14006 18020D94
	v_pk_mul_f32 v[8:9], v[148:149], v[8:9]                    // 0000000083CC: D3B14008 18021194
	v_pk_mul_f32 v[10:11], v[148:149], v[10:11]                // 0000000083D4: D3B1400A 18021594
	v_pk_mul_f32 v[12:13], v[148:149], v[12:13]                // 0000000083DC: D3B1400C 18021994
	v_pk_mul_f32 v[14:15], v[148:149], v[14:15]                // 0000000083E4: D3B1400E 18021D94
	v_pk_mul_f32 v[16:17], v[148:149], v[16:17]                // 0000000083EC: D3B14010 18022194
	v_pk_mul_f32 v[18:19], v[148:149], v[18:19]                // 0000000083F4: D3B14012 18022594
	v_mul_f32_dpp v4, v155, v4 row_newbcast:0 row_mask:0xf bank_mask:0xf// 0000000083FC: 0A0808FA FF01509B
	v_mul_f32_dpp v5, v155, v5 row_newbcast:1 row_mask:0xf bank_mask:0xf// 000000008404: 0A0A0AFA FF01519B
	v_mul_f32_dpp v6, v155, v6 row_newbcast:2 row_mask:0xf bank_mask:0xf// 00000000840C: 0A0C0CFA FF01529B
	v_mul_f32_dpp v7, v155, v7 row_newbcast:3 row_mask:0xf bank_mask:0xf// 000000008414: 0A0E0EFA FF01539B
	v_mul_f32_dpp v8, v155, v8 row_newbcast:4 row_mask:0xf bank_mask:0xf// 00000000841C: 0A1010FA FF01549B
	v_mul_f32_dpp v9, v155, v9 row_newbcast:5 row_mask:0xf bank_mask:0xf// 000000008424: 0A1212FA FF01559B
	v_mul_f32_dpp v10, v155, v10 row_newbcast:6 row_mask:0xf bank_mask:0xf// 00000000842C: 0A1414FA FF01569B
	v_mul_f32_dpp v11, v155, v11 row_newbcast:7 row_mask:0xf bank_mask:0xf// 000000008434: 0A1616FA FF01579B
	v_mul_f32_dpp v12, v155, v12 row_newbcast:8 row_mask:0xf bank_mask:0xf// 00000000843C: 0A1818FA FF01589B
	v_mul_f32_dpp v13, v155, v13 row_newbcast:9 row_mask:0xf bank_mask:0xf// 000000008444: 0A1A1AFA FF01599B
	v_mul_f32_dpp v14, v155, v14 row_newbcast:10 row_mask:0xf bank_mask:0xf// 00000000844C: 0A1C1CFA FF015A9B
	v_mul_f32_dpp v15, v155, v15 row_newbcast:11 row_mask:0xf bank_mask:0xf// 000000008454: 0A1E1EFA FF015B9B
	v_mul_f32_dpp v16, v155, v16 row_newbcast:12 row_mask:0xf bank_mask:0xf// 00000000845C: 0A2020FA FF015C9B
	v_mul_f32_dpp v17, v155, v17 row_newbcast:13 row_mask:0xf bank_mask:0xf// 000000008464: 0A2222FA FF015D9B
	v_mul_f32_dpp v18, v155, v18 row_newbcast:14 row_mask:0xf bank_mask:0xf// 00000000846C: 0A2424FA FF015E9B
	v_mul_f32_dpp v19, v155, v19 row_newbcast:15 row_mask:0xf bank_mask:0xf// 000000008474: 0A2626FA FF015F9B
	v_pk_mul_f32 v[20:21], v[150:151], v[20:21]                // 00000000847C: D3B14014 18022996
	v_pk_mul_f32 v[22:23], v[150:151], v[22:23]                // 000000008484: D3B14016 18022D96
	v_pk_mul_f32 v[24:25], v[150:151], v[24:25]                // 00000000848C: D3B14018 18023196
	v_pk_mul_f32 v[26:27], v[150:151], v[26:27]                // 000000008494: D3B1401A 18023596
	v_pk_mul_f32 v[28:29], v[150:151], v[28:29]                // 00000000849C: D3B1401C 18023996
	v_pk_mul_f32 v[30:31], v[150:151], v[30:31]                // 0000000084A4: D3B1401E 18023D96
	v_pk_mul_f32 v[32:33], v[150:151], v[32:33]                // 0000000084AC: D3B14020 18024196
	v_pk_mul_f32 v[34:35], v[150:151], v[34:35]                // 0000000084B4: D3B14022 18024596
	v_mul_f32_dpp v20, v155, v20 row_newbcast:0 row_mask:0xf bank_mask:0xf// 0000000084BC: 0A2828FA FF01509B
	v_mul_f32_dpp v21, v155, v21 row_newbcast:1 row_mask:0xf bank_mask:0xf// 0000000084C4: 0A2A2AFA FF01519B
	v_mul_f32_dpp v22, v155, v22 row_newbcast:2 row_mask:0xf bank_mask:0xf// 0000000084CC: 0A2C2CFA FF01529B
	v_mul_f32_dpp v23, v155, v23 row_newbcast:3 row_mask:0xf bank_mask:0xf// 0000000084D4: 0A2E2EFA FF01539B
	v_mul_f32_dpp v24, v155, v24 row_newbcast:4 row_mask:0xf bank_mask:0xf// 0000000084DC: 0A3030FA FF01549B
	v_mul_f32_dpp v25, v155, v25 row_newbcast:5 row_mask:0xf bank_mask:0xf// 0000000084E4: 0A3232FA FF01559B
	v_mul_f32_dpp v26, v155, v26 row_newbcast:6 row_mask:0xf bank_mask:0xf// 0000000084EC: 0A3434FA FF01569B
	v_mul_f32_dpp v27, v155, v27 row_newbcast:7 row_mask:0xf bank_mask:0xf// 0000000084F4: 0A3636FA FF01579B
	v_mul_f32_dpp v28, v155, v28 row_newbcast:8 row_mask:0xf bank_mask:0xf// 0000000084FC: 0A3838FA FF01589B
	v_mul_f32_dpp v29, v155, v29 row_newbcast:9 row_mask:0xf bank_mask:0xf// 000000008504: 0A3A3AFA FF01599B
	v_mul_f32_dpp v30, v155, v30 row_newbcast:10 row_mask:0xf bank_mask:0xf// 00000000850C: 0A3C3CFA FF015A9B
	v_mul_f32_dpp v31, v155, v31 row_newbcast:11 row_mask:0xf bank_mask:0xf// 000000008514: 0A3E3EFA FF015B9B
	v_mul_f32_dpp v32, v155, v32 row_newbcast:12 row_mask:0xf bank_mask:0xf// 00000000851C: 0A4040FA FF015C9B
	v_mul_f32_dpp v33, v155, v33 row_newbcast:13 row_mask:0xf bank_mask:0xf// 000000008524: 0A4242FA FF015D9B
	v_mul_f32_dpp v34, v155, v34 row_newbcast:14 row_mask:0xf bank_mask:0xf// 00000000852C: 0A4444FA FF015E9B
	v_mul_f32_dpp v35, v155, v35 row_newbcast:15 row_mask:0xf bank_mask:0xf// 000000008534: 0A4646FA FF015F9B
	v_pk_mul_f32 v[36:37], v[152:153], v[36:37]                // 00000000853C: D3B14024 18024998
	v_pk_mul_f32 v[38:39], v[152:153], v[38:39]                // 000000008544: D3B14026 18024D98
	v_pk_mul_f32 v[40:41], v[152:153], v[40:41]                // 00000000854C: D3B14028 18025198
	v_pk_mul_f32 v[42:43], v[152:153], v[42:43]                // 000000008554: D3B1402A 18025598
	v_mul_f32_dpp v36, v164, v36 quad_perm:[0,0,0,0] row_mask:0xf bank_mask:0xf// 00000000855C: 0A4848FA FF0000A4
	v_mul_f32_dpp v37, v164, v37 quad_perm:[1,1,1,1] row_mask:0xf bank_mask:0xf// 000000008564: 0A4A4AFA FF0055A4
	v_mul_f32_dpp v38, v164, v38 quad_perm:[2,2,2,2] row_mask:0xf bank_mask:0xf// 00000000856C: 0A4C4CFA FF00AAA4
	v_mul_f32_dpp v39, v164, v39 quad_perm:[3,3,3,3] row_mask:0xf bank_mask:0xf// 000000008574: 0A4E4EFA FF00FFA4
	v_mul_f32_dpp v40, v165, v40 quad_perm:[0,0,0,0] row_mask:0xf bank_mask:0xf// 00000000857C: 0A5050FA FF0000A5
	v_mul_f32_dpp v41, v165, v41 quad_perm:[1,1,1,1] row_mask:0xf bank_mask:0xf// 000000008584: 0A5252FA FF0055A5
	v_mul_f32_dpp v42, v165, v42 quad_perm:[2,2,2,2] row_mask:0xf bank_mask:0xf// 00000000858C: 0A5454FA FF00AAA5
	v_mul_f32_dpp v43, v165, v43 quad_perm:[3,3,3,3] row_mask:0xf bank_mask:0xf// 000000008594: 0A5656FA FF00FFA5
	v_mov_b32_e32 v190, v36                                    // 00000000859C: 7F7C0324
	v_max3_f32 v190, v36, v37, v190                            // 0000000085A0: D1D300BE 06FA4B24
	v_max3_f32 v190, v38, v39, v190                            // 0000000085A8: D1D300BE 06FA4F26
	v_max3_f32 v190, v40, v41, v190                            // 0000000085B0: D1D300BE 06FA5328
	v_max3_f32 v190, v42, v43, v190                            // 0000000085B8: D1D300BE 06FA572A
	v_mov_b32_e32 v189, v20                                    // 0000000085C0: 7F7A0314
	v_max3_f32 v189, v20, v21, v189                            // 0000000085C4: D1D300BD 06F62B14
	v_max3_f32 v189, v22, v23, v189                            // 0000000085CC: D1D300BD 06F62F16
	v_max3_f32 v189, v24, v25, v189                            // 0000000085D4: D1D300BD 06F63318
	v_max3_f32 v189, v26, v27, v189                            // 0000000085DC: D1D300BD 06F6371A
	v_max3_f32 v189, v28, v29, v189                            // 0000000085E4: D1D300BD 06F63B1C
	v_max3_f32 v189, v30, v31, v189                            // 0000000085EC: D1D300BD 06F63F1E
	v_max3_f32 v189, v32, v33, v189                            // 0000000085F4: D1D300BD 06F64320
	v_max3_f32 v189, v34, v35, v189                            // 0000000085FC: D1D300BD 06F64722
	v_mov_b32_e32 v188, v4                                     // 000000008604: 7F780304
	v_max3_f32 v188, v4, v5, v188                              // 000000008608: D1D300BC 06F20B04
	v_max3_f32 v188, v6, v7, v188                              // 000000008610: D1D300BC 06F20F06
	v_max3_f32 v188, v8, v9, v188                              // 000000008618: D1D300BC 06F21308
	v_max3_f32 v188, v10, v11, v188                            // 000000008620: D1D300BC 06F2170A
	v_max3_f32 v188, v12, v13, v188                            // 000000008628: D1D300BC 06F21B0C
	v_max3_f32 v188, v14, v15, v188                            // 000000008630: D1D300BC 06F21F0E
	v_max3_f32 v188, v16, v17, v188                            // 000000008638: D1D300BC 06F22310
	v_max3_f32 v188, v18, v19, v188                            // 000000008640: D1D300BC 06F22712
	v_max_f32_dpp v190, v190, v190 row_ror:8 row_mask:0xf bank_mask:0xf// 000000008648: 177D7CFA FF0128BE
	v_pk_mul_f32 v[124:125], v[200:201], v[124:125]            // 000000008650: D3B1407C 1802F9C8
	v_pk_mul_f32 v[126:127], v[200:201], v[126:127]            // 000000008658: D3B1407E 1802FDC8
	v_pk_mul_f32 v[128:129], v[200:201], v[128:129]            // 000000008660: D3B14080 180301C8
	v_pk_mul_f32 v[130:131], v[200:201], v[130:131]            // 000000008668: D3B14082 180305C8
	v_pk_mul_f32 v[132:133], v[202:203], v[132:133]            // 000000008670: D3B14084 180309CA
	v_pk_mul_f32 v[134:135], v[202:203], v[134:135]            // 000000008678: D3B14086 18030DCA
	v_pk_mul_f32 v[136:137], v[202:203], v[136:137]            // 000000008680: D3B14088 180311CA
	v_pk_mul_f32 v[138:139], v[202:203], v[138:139]            // 000000008688: D3B1408A 180315CA
	v_pk_mul_f32 v[140:141], v[204:205], v[140:141]            // 000000008690: D3B1408C 180319CC
	v_pk_mul_f32 v[142:143], v[204:205], v[142:143]            // 000000008698: D3B1408E 18031DCC
	v_pk_mul_f32 v[144:145], v[204:205], v[144:145]            // 0000000086A0: D3B14090 180321CC
	v_pk_mul_f32 v[146:147], v[204:205], v[146:147]            // 0000000086A8: D3B14092 180325CC
	ds_bpermute_b32 v172, v212, v188                           // 0000000086B0: D87E0000 AC00BCD4
	ds_bpermute_b32 v173, v213, v188                           // 0000000086B8: D87E0000 AD00BCD5
	ds_bpermute_b32 v174, v214, v188                           // 0000000086C0: D87E0000 AE00BCD6
	ds_bpermute_b32 v175, v212, v189                           // 0000000086C8: D87E0000 AF00BDD4
	ds_bpermute_b32 v176, v213, v189                           // 0000000086D0: D87E0000 B000BDD5
	ds_bpermute_b32 v177, v214, v189                           // 0000000086D8: D87E0000 B100BDD6
	ds_bpermute_b32 v178, v212, v190                           // 0000000086E0: D87E0000 B200BED4
	ds_bpermute_b32 v179, v213, v190                           // 0000000086E8: D87E0000 B300BED5
	ds_bpermute_b32 v180, v214, v190                           // 0000000086F0: D87E0000 B400BED6
	s_waitcnt lgkmcnt(6)                                       // 0000000086F8: BF8CC67F
	v_max3_f32 v188, v172, v173, v188                          // 0000000086FC: D1D300BC 06F35BAC
	v_max_f32_e32 v188, v174, v188                             // 000000008704: 177979AE
	s_waitcnt lgkmcnt(3)                                       // 000000008708: BF8CC37F
	v_max3_f32 v189, v175, v176, v189                          // 00000000870C: D1D300BD 06F761AF
	v_max_f32_e32 v189, v177, v189                             // 000000008714: 177B7BB1
	s_waitcnt lgkmcnt(0)                                       // 000000008718: BF8CC07F
	v_max3_f32 v190, v178, v179, v190                          // 00000000871C: D1D300BE 06FB67B2
	v_max_f32_e32 v190, v180, v190                             // 000000008724: 177D7DB4
	ds_write_b128 v246, v[188:191]                             // 000000008728: D9BE0000 0000BCF6
	s_waitcnt lgkmcnt(0)                                       // 000000008730: BF8CC07F
	s_barrier                                                  // 000000008734: BF8A0000
	v_pk_mul_f32 v[100:101], v[158:159], v[100:101]            // 000000008738: D3B14064 1802C99E
	v_pk_mul_f32 v[102:103], v[158:159], v[102:103]            // 000000008740: D3B14066 1802CD9E
	v_pk_mul_f32 v[104:105], v[158:159], v[104:105]            // 000000008748: D3B14068 1802D19E
	v_pk_mul_f32 v[106:107], v[158:159], v[106:107]            // 000000008750: D3B1406A 1802D59E
	v_pk_mul_f32 v[108:109], v[160:161], v[108:109]            // 000000008758: D3B1406C 1802D9A0
	v_pk_mul_f32 v[110:111], v[160:161], v[110:111]            // 000000008760: D3B1406E 1802DDA0
	v_pk_mul_f32 v[112:113], v[160:161], v[112:113]            // 000000008768: D3B14070 1802E1A0
	v_pk_mul_f32 v[114:115], v[160:161], v[114:115]            // 000000008770: D3B14072 1802E5A0
	v_pk_mul_f32 v[116:117], v[162:163], v[116:117]            // 000000008778: D3B14074 1802E9A2
	v_pk_mul_f32 v[118:119], v[162:163], v[118:119]            // 000000008780: D3B14076 1802EDA2
	v_pk_mul_f32 v[120:121], v[162:163], v[120:121]            // 000000008788: D3B14078 1802F1A2
	v_pk_mul_f32 v[122:123], v[162:163], v[122:123]            // 000000008790: D3B1407A 1802F5A2
	ds_read_b128 v[172:175], v247                              // 000000008798: D9FE0000 AC0000F7
	ds_read_b128 v[176:179], v247 offset:256                   // 0000000087A0: D9FE0100 B00000F7
	ds_read_b128 v[180:183], v247 offset:512                   // 0000000087A8: D9FE0200 B40000F7
	ds_read_b128 v[184:187], v247 offset:768                   // 0000000087B0: D9FE0300 B80000F7
	s_waitcnt lgkmcnt(0)                                       // 0000000087B8: BF8CC07F
	v_max3_f32 v188, v172, v176, v188                          // 0000000087BC: D1D300BC 06F361AC
	v_max3_f32 v189, v173, v177, v189                          // 0000000087C4: D1D300BD 06F763AD
	v_max3_f32 v190, v174, v178, v190                          // 0000000087CC: D1D300BE 06FB65AE
	v_max3_f32 v188, v180, v184, v188                          // 0000000087D4: D1D300BC 06F371B4
	v_max3_f32 v189, v181, v185, v189                          // 0000000087DC: D1D300BD 06F773B5
	v_max3_f32 v190, v182, v186, v190                          // 0000000087E4: D1D300BE 06FB75B6
	v_max_f32_e32 v197, v188, v194                             // 0000000087EC: 178B85BC
	v_mul_f32_e64 v168, -s51, v197                             // 0000000087F0: D10500A8 20038A33
	v_mov_b32_e32 v169, v168                                   // 0000000087F8: 7F5203A8
	v_pk_fma_f32 v[4:5], v[4:5], s[86:87], v[168:169]          // 0000000087FC: D3B04004 1EA0AD04
	v_pk_fma_f32 v[6:7], v[6:7], s[86:87], v[168:169]          // 000000008804: D3B04006 1EA0AD06
	v_exp_f32_e32 v4, v4                                       // 00000000880C: 7E084104
	v_exp_f32_e32 v5, v5                                       // 000000008810: 7E0A4105
	v_exp_f32_e32 v6, v6                                       // 000000008814: 7E0C4106
	v_exp_f32_e32 v7, v7                                       // 000000008818: 7E0E4107
	v_pk_fma_f32 v[8:9], v[8:9], s[86:87], v[168:169]          // 00000000881C: D3B04008 1EA0AD08
	v_pk_fma_f32 v[10:11], v[10:11], s[86:87], v[168:169]      // 000000008824: D3B0400A 1EA0AD0A
	v_exp_f32_e32 v8, v8                                       // 00000000882C: 7E104108
	v_exp_f32_e32 v9, v9                                       // 000000008830: 7E124109
	v_exp_f32_e32 v10, v10                                     // 000000008834: 7E14410A
	v_exp_f32_e32 v11, v11                                     // 000000008838: 7E16410B
	v_pk_fma_f32 v[12:13], v[12:13], s[86:87], v[168:169]      // 00000000883C: D3B0400C 1EA0AD0C
	v_pk_fma_f32 v[14:15], v[14:15], s[86:87], v[168:169]      // 000000008844: D3B0400E 1EA0AD0E
	v_exp_f32_e32 v12, v12                                     // 00000000884C: 7E18410C
	v_exp_f32_e32 v13, v13                                     // 000000008850: 7E1A410D
	v_exp_f32_e32 v14, v14                                     // 000000008854: 7E1C410E
	v_exp_f32_e32 v15, v15                                     // 000000008858: 7E1E410F
	v_pk_fma_f32 v[16:17], v[16:17], s[86:87], v[168:169]      // 00000000885C: D3B04010 1EA0AD10
	v_pk_fma_f32 v[18:19], v[18:19], s[86:87], v[168:169]      // 000000008864: D3B04012 1EA0AD12
	v_exp_f32_e32 v16, v16                                     // 00000000886C: 7E204110
	v_exp_f32_e32 v17, v17                                     // 000000008870: 7E224111
	v_exp_f32_e32 v18, v18                                     // 000000008874: 7E244112
	v_exp_f32_e32 v19, v19                                     // 000000008878: 7E264113
	v_max_f32_e32 v198, v189, v195                             // 00000000887C: 178D87BD
	v_mul_f32_e64 v168, -s51, v198                             // 000000008880: D10500A8 20038C33
	v_mov_b32_e32 v169, v168                                   // 000000008888: 7F5203A8
	v_pk_fma_f32 v[20:21], v[20:21], s[86:87], v[168:169]      // 00000000888C: D3B04014 1EA0AD14
	v_pk_fma_f32 v[22:23], v[22:23], s[86:87], v[168:169]      // 000000008894: D3B04016 1EA0AD16
	v_exp_f32_e32 v20, v20                                     // 00000000889C: 7E284114
	v_exp_f32_e32 v21, v21                                     // 0000000088A0: 7E2A4115
	v_exp_f32_e32 v22, v22                                     // 0000000088A4: 7E2C4116
	v_exp_f32_e32 v23, v23                                     // 0000000088A8: 7E2E4117
	v_pk_fma_f32 v[24:25], v[24:25], s[86:87], v[168:169]      // 0000000088AC: D3B04018 1EA0AD18
	v_pk_fma_f32 v[26:27], v[26:27], s[86:87], v[168:169]      // 0000000088B4: D3B0401A 1EA0AD1A
	v_exp_f32_e32 v24, v24                                     // 0000000088BC: 7E304118
	v_exp_f32_e32 v25, v25                                     // 0000000088C0: 7E324119
	v_exp_f32_e32 v26, v26                                     // 0000000088C4: 7E34411A
	v_exp_f32_e32 v27, v27                                     // 0000000088C8: 7E36411B
	v_pk_fma_f32 v[28:29], v[28:29], s[86:87], v[168:169]      // 0000000088CC: D3B0401C 1EA0AD1C
	v_pk_fma_f32 v[30:31], v[30:31], s[86:87], v[168:169]      // 0000000088D4: D3B0401E 1EA0AD1E
	v_exp_f32_e32 v28, v28                                     // 0000000088DC: 7E38411C
	v_exp_f32_e32 v29, v29                                     // 0000000088E0: 7E3A411D
	v_exp_f32_e32 v30, v30                                     // 0000000088E4: 7E3C411E
	v_exp_f32_e32 v31, v31                                     // 0000000088E8: 7E3E411F
	v_pk_fma_f32 v[32:33], v[32:33], s[86:87], v[168:169]      // 0000000088EC: D3B04020 1EA0AD20
	v_pk_fma_f32 v[34:35], v[34:35], s[86:87], v[168:169]      // 0000000088F4: D3B04022 1EA0AD22
	v_exp_f32_e32 v32, v32                                     // 0000000088FC: 7E404120
	v_exp_f32_e32 v33, v33                                     // 000000008900: 7E424121
	v_exp_f32_e32 v34, v34                                     // 000000008904: 7E444122
	v_exp_f32_e32 v35, v35                                     // 000000008908: 7E464123
	v_max_f32_e32 v199, v190, v196                             // 00000000890C: 178F89BE
	v_mul_f32_e64 v168, -s51, v199                             // 000000008910: D10500A8 20038E33
	v_mov_b32_e32 v169, v168                                   // 000000008918: 7F5203A8
	v_pk_fma_f32 v[36:37], v[36:37], s[86:87], v[168:169]      // 00000000891C: D3B04024 1EA0AD24
	v_pk_fma_f32 v[38:39], v[38:39], s[86:87], v[168:169]      // 000000008924: D3B04026 1EA0AD26
	v_exp_f32_e32 v36, v36                                     // 00000000892C: 7E484124
	v_exp_f32_e32 v37, v37                                     // 000000008930: 7E4A4125
	v_exp_f32_e32 v38, v38                                     // 000000008934: 7E4C4126
	v_exp_f32_e32 v39, v39                                     // 000000008938: 7E4E4127
	v_pk_fma_f32 v[40:41], v[40:41], s[86:87], v[168:169]      // 00000000893C: D3B04028 1EA0AD28
	v_pk_fma_f32 v[42:43], v[42:43], s[86:87], v[168:169]      // 000000008944: D3B0402A 1EA0AD2A
	v_exp_f32_e32 v40, v40                                     // 00000000894C: 7E504128
	v_exp_f32_e32 v41, v41                                     // 000000008950: 7E524129
	v_exp_f32_e32 v42, v42                                     // 000000008954: 7E54412A
	v_exp_f32_e32 v43, v43                                     // 000000008958: 7E56412B
	v_mul_f32_dpp v52, v157, v4 row_newbcast:0 row_mask:0xf bank_mask:0xf// 00000000895C: 0A6808FA FF01509D
	v_mul_f32_dpp v53, v157, v5 row_newbcast:1 row_mask:0xf bank_mask:0xf// 000000008964: 0A6A0AFA FF01519D
	v_mul_f32_dpp v54, v157, v6 row_newbcast:2 row_mask:0xf bank_mask:0xf// 00000000896C: 0A6C0CFA FF01529D
	v_mul_f32_dpp v55, v157, v7 row_newbcast:3 row_mask:0xf bank_mask:0xf// 000000008974: 0A6E0EFA FF01539D
	v_mul_f32_dpp v56, v157, v8 row_newbcast:4 row_mask:0xf bank_mask:0xf// 00000000897C: 0A7010FA FF01549D
	v_mul_f32_dpp v57, v157, v9 row_newbcast:5 row_mask:0xf bank_mask:0xf// 000000008984: 0A7212FA FF01559D
	v_mul_f32_dpp v58, v157, v10 row_newbcast:6 row_mask:0xf bank_mask:0xf// 00000000898C: 0A7414FA FF01569D
	v_mul_f32_dpp v59, v157, v11 row_newbcast:7 row_mask:0xf bank_mask:0xf// 000000008994: 0A7616FA FF01579D
	v_mul_f32_dpp v60, v157, v12 row_newbcast:8 row_mask:0xf bank_mask:0xf// 00000000899C: 0A7818FA FF01589D
	v_mul_f32_dpp v61, v157, v13 row_newbcast:9 row_mask:0xf bank_mask:0xf// 0000000089A4: 0A7A1AFA FF01599D
	v_mul_f32_dpp v62, v157, v14 row_newbcast:10 row_mask:0xf bank_mask:0xf// 0000000089AC: 0A7C1CFA FF015A9D
	v_mul_f32_dpp v63, v157, v15 row_newbcast:11 row_mask:0xf bank_mask:0xf// 0000000089B4: 0A7E1EFA FF015B9D
	v_mul_f32_dpp v64, v157, v16 row_newbcast:12 row_mask:0xf bank_mask:0xf// 0000000089BC: 0A8020FA FF015C9D
	v_mul_f32_dpp v65, v157, v17 row_newbcast:13 row_mask:0xf bank_mask:0xf// 0000000089C4: 0A8222FA FF015D9D
	v_mul_f32_dpp v66, v157, v18 row_newbcast:14 row_mask:0xf bank_mask:0xf// 0000000089CC: 0A8424FA FF015E9D
	v_mul_f32_dpp v67, v157, v19 row_newbcast:15 row_mask:0xf bank_mask:0xf// 0000000089D4: 0A8626FA FF015F9D
	v_mul_f32_dpp v68, v157, v20 row_newbcast:0 row_mask:0xf bank_mask:0xf// 0000000089DC: 0A8828FA FF01509D
	v_mul_f32_dpp v69, v157, v21 row_newbcast:1 row_mask:0xf bank_mask:0xf// 0000000089E4: 0A8A2AFA FF01519D
	v_mul_f32_dpp v70, v157, v22 row_newbcast:2 row_mask:0xf bank_mask:0xf// 0000000089EC: 0A8C2CFA FF01529D
	v_mul_f32_dpp v71, v157, v23 row_newbcast:3 row_mask:0xf bank_mask:0xf// 0000000089F4: 0A8E2EFA FF01539D
	v_mul_f32_dpp v72, v157, v24 row_newbcast:4 row_mask:0xf bank_mask:0xf// 0000000089FC: 0A9030FA FF01549D
	v_mul_f32_dpp v73, v157, v25 row_newbcast:5 row_mask:0xf bank_mask:0xf// 000000008A04: 0A9232FA FF01559D
	v_mul_f32_dpp v74, v157, v26 row_newbcast:6 row_mask:0xf bank_mask:0xf// 000000008A0C: 0A9434FA FF01569D
	v_mul_f32_dpp v75, v157, v27 row_newbcast:7 row_mask:0xf bank_mask:0xf// 000000008A14: 0A9636FA FF01579D
	v_mul_f32_dpp v76, v157, v28 row_newbcast:8 row_mask:0xf bank_mask:0xf// 000000008A1C: 0A9838FA FF01589D
	v_mul_f32_dpp v77, v157, v29 row_newbcast:9 row_mask:0xf bank_mask:0xf// 000000008A24: 0A9A3AFA FF01599D
	v_mul_f32_dpp v78, v157, v30 row_newbcast:10 row_mask:0xf bank_mask:0xf// 000000008A2C: 0A9C3CFA FF015A9D
	v_mul_f32_dpp v79, v157, v31 row_newbcast:11 row_mask:0xf bank_mask:0xf// 000000008A34: 0A9E3EFA FF015B9D
	v_mul_f32_dpp v80, v157, v32 row_newbcast:12 row_mask:0xf bank_mask:0xf// 000000008A3C: 0AA040FA FF015C9D
	v_mul_f32_dpp v81, v157, v33 row_newbcast:13 row_mask:0xf bank_mask:0xf// 000000008A44: 0AA242FA FF015D9D
	v_mul_f32_dpp v82, v157, v34 row_newbcast:14 row_mask:0xf bank_mask:0xf// 000000008A4C: 0AA444FA FF015E9D
	v_mul_f32_dpp v83, v157, v35 row_newbcast:15 row_mask:0xf bank_mask:0xf// 000000008A54: 0AA646FA FF015F9D
	v_mul_f32_dpp v84, v166, v36 quad_perm:[0,0,0,0] row_mask:0xf bank_mask:0xf// 000000008A5C: 0AA848FA FF0000A6
	v_mul_f32_dpp v85, v166, v37 quad_perm:[1,1,1,1] row_mask:0xf bank_mask:0xf// 000000008A64: 0AAA4AFA FF0055A6
	v_mul_f32_dpp v86, v166, v38 quad_perm:[2,2,2,2] row_mask:0xf bank_mask:0xf// 000000008A6C: 0AAC4CFA FF00AAA6
	v_mul_f32_dpp v87, v166, v39 quad_perm:[3,3,3,3] row_mask:0xf bank_mask:0xf// 000000008A74: 0AAE4EFA FF00FFA6
	v_mul_f32_dpp v88, v167, v40 quad_perm:[0,0,0,0] row_mask:0xf bank_mask:0xf// 000000008A7C: 0AB050FA FF0000A7
	v_mul_f32_dpp v89, v167, v41 quad_perm:[1,1,1,1] row_mask:0xf bank_mask:0xf// 000000008A84: 0AB252FA FF0055A7
	v_mul_f32_dpp v90, v167, v42 quad_perm:[2,2,2,2] row_mask:0xf bank_mask:0xf// 000000008A8C: 0AB454FA FF00AAA7
	v_mul_f32_dpp v91, v167, v43 quad_perm:[3,3,3,3] row_mask:0xf bank_mask:0xf// 000000008A94: 0AB656FA FF00FFA7
	v_mov_b32_e32 v190, 0x358637bd                             // 000000008A9C: 7F7C02FF 358637BD
	v_max3_f32 v190, |v84|, |v85|, v190                        // 000000008AA4: D1D303BE 06FAAB54
	v_max3_f32 v190, |v86|, |v87|, v190                        // 000000008AAC: D1D303BE 06FAAF56
	v_max3_f32 v190, |v88|, |v89|, v190                        // 000000008AB4: D1D303BE 06FAB358
	v_max3_f32 v190, |v90|, |v91|, v190                        // 000000008ABC: D1D303BE 06FAB75A
	v_mov_b32_e32 v189, 0x358637bd                             // 000000008AC4: 7F7A02FF 358637BD
	v_max3_f32 v189, |v68|, |v69|, v189                        // 000000008ACC: D1D303BD 06F68B44
	v_max3_f32 v189, |v70|, |v71|, v189                        // 000000008AD4: D1D303BD 06F68F46
	v_max3_f32 v189, |v72|, |v73|, v189                        // 000000008ADC: D1D303BD 06F69348
	v_max3_f32 v189, |v74|, |v75|, v189                        // 000000008AE4: D1D303BD 06F6974A
	v_max3_f32 v189, |v76|, |v77|, v189                        // 000000008AEC: D1D303BD 06F69B4C
	v_max3_f32 v189, |v78|, |v79|, v189                        // 000000008AF4: D1D303BD 06F69F4E
	v_max3_f32 v189, |v80|, |v81|, v189                        // 000000008AFC: D1D303BD 06F6A350
	v_max3_f32 v189, |v82|, |v83|, v189                        // 000000008B04: D1D303BD 06F6A752
	v_mov_b32_e32 v188, 0x358637bd                             // 000000008B0C: 7F7802FF 358637BD
	v_max3_f32 v188, |v52|, |v53|, v188                        // 000000008B14: D1D303BC 06F26B34
	v_max3_f32 v188, |v54|, |v55|, v188                        // 000000008B1C: D1D303BC 06F26F36
	v_max3_f32 v188, |v56|, |v57|, v188                        // 000000008B24: D1D303BC 06F27338
	v_max3_f32 v188, |v58|, |v59|, v188                        // 000000008B2C: D1D303BC 06F2773A
	v_max3_f32 v188, |v60|, |v61|, v188                        // 000000008B34: D1D303BC 06F27B3C
	v_max3_f32 v188, |v62|, |v63|, v188                        // 000000008B3C: D1D303BC 06F27F3E
	v_max3_f32 v188, |v64|, |v65|, v188                        // 000000008B44: D1D303BC 06F28340
	v_max3_f32 v188, |v66|, |v67|, v188                        // 000000008B4C: D1D303BC 06F28742
	v_max_f32_dpp v190, v190, v190 row_ror:8 row_mask:0xf bank_mask:0xf// 000000008B54: 177D7CFA FF0128BE
	ds_bpermute_b32 v172, v212, v188                           // 000000008B5C: D87E0000 AC00BCD4
	ds_bpermute_b32 v173, v213, v188                           // 000000008B64: D87E0000 AD00BCD5
	ds_bpermute_b32 v174, v214, v188                           // 000000008B6C: D87E0000 AE00BCD6
	ds_bpermute_b32 v175, v212, v189                           // 000000008B74: D87E0000 AF00BDD4
	ds_bpermute_b32 v176, v213, v189                           // 000000008B7C: D87E0000 B000BDD5
	ds_bpermute_b32 v177, v214, v189                           // 000000008B84: D87E0000 B100BDD6
	ds_bpermute_b32 v178, v212, v190                           // 000000008B8C: D87E0000 B200BED4
	ds_bpermute_b32 v179, v213, v190                           // 000000008B94: D87E0000 B300BED5
	ds_bpermute_b32 v180, v214, v190                           // 000000008B9C: D87E0000 B400BED6
	s_waitcnt lgkmcnt(6)                                       // 000000008BA4: BF8CC67F
	v_max3_f32 v188, v172, v173, v188                          // 000000008BA8: D1D300BC 06F35BAC
	v_max_f32_e32 v188, v174, v188                             // 000000008BB0: 177979AE
	s_waitcnt lgkmcnt(3)                                       // 000000008BB4: BF8CC37F
	v_max3_f32 v189, v175, v176, v189                          // 000000008BB8: D1D300BD 06F761AF
	v_max_f32_e32 v189, v177, v189                             // 000000008BC0: 177B7BB1
	s_waitcnt lgkmcnt(0)                                       // 000000008BC4: BF8CC07F
	v_max3_f32 v190, v178, v179, v190                          // 000000008BC8: D1D300BE 06FB67B2
	v_max_f32_e32 v190, v180, v190                             // 000000008BD0: 177D7DB4
	ds_write_b128 v246, v[188:191] offset:4096                 // 000000008BD4: D9BE1000 0000BCF6
	buffer_load_dword v154, v238, s[28:31], 0 offen            // 000000008BDC: E0501000 80079AEE
	v_sub_f32_e32 v200, v194, v197                             // 000000008BE4: 05918BC2
	v_cmp_eq_u32_e64 s[84:85], v225, v194                      // 000000008BE8: D0CA0054 000385E1
	v_cndmask_b32_e64 v200, v200, 0, s[84:85]                  // 000000008BF0: D10000C8 015101C8
	v_mov_b32_e32 v194, v197                                   // 000000008BF8: 7F8403C5
	v_mul_f32_e32 v200, s51, v200                              // 000000008BFC: 0B919033
	v_exp_f32_e32 v200, v200                                   // 000000008C00: 7F9041C8
	v_sub_f32_e32 v202, v195, v198                             // 000000008C04: 05958DC3
	v_cmp_eq_u32_e64 s[84:85], v225, v195                      // 000000008C08: D0CA0054 000387E1
	v_cndmask_b32_e64 v202, v202, 0, s[84:85]                  // 000000008C10: D10000CA 015101CA
	v_mov_b32_e32 v195, v198                                   // 000000008C18: 7F8603C6
	v_mul_f32_e32 v202, s51, v202                              // 000000008C1C: 0B959433
	v_exp_f32_e32 v202, v202                                   // 000000008C20: 7F9441CA
	v_sub_f32_e32 v204, v196, v199                             // 000000008C24: 05998FC4
	v_cmp_eq_u32_e64 s[84:85], v225, v196                      // 000000008C28: D0CA0054 000389E1
	v_cndmask_b32_e64 v204, v204, 0, s[84:85]                  // 000000008C30: D10000CC 015101CC
	v_mov_b32_e32 v196, v199                                   // 000000008C38: 7F8803C7
	v_mul_f32_e32 v204, s51, v204                              // 000000008C3C: 0B999833
	v_exp_f32_e32 v204, v204                                   // 000000008C40: 7F9841CC
	v_mov_b32_e32 v201, v200                                   // 000000008C44: 7F9203C8
	v_mov_b32_e32 v203, v202                                   // 000000008C48: 7F9603CA
	v_mov_b32_e32 v205, v204                                   // 000000008C4C: 7F9A03CC
	s_waitcnt lgkmcnt(0)                                       // 000000008C50: BF8CC07F
	s_barrier                                                  // 000000008C54: BF8A0000
	buffer_load_dword v156, v239, s[32:35], 0 offen            // 000000008C58: E0501000 80089CEF
	v_mul_f32_e32 v206, v200, v206                             // 000000008C60: 0B9D9DC8
	v_mov_b32_e32 v207, 0                                      // 000000008C64: 7F9E0280
	v_pk_add_f32 v[206:207], v[4:5], v[206:207]                // 000000008C68: D3B240CE 18039D04
	v_pk_add_f32 v[206:207], v[6:7], v[206:207]                // 000000008C70: D3B240CE 18039D06
	v_pk_add_f32 v[206:207], v[8:9], v[206:207]                // 000000008C78: D3B240CE 18039D08
	v_pk_add_f32 v[206:207], v[10:11], v[206:207]              // 000000008C80: D3B240CE 18039D0A
	v_pk_add_f32 v[206:207], v[12:13], v[206:207]              // 000000008C88: D3B240CE 18039D0C
	v_pk_add_f32 v[206:207], v[14:15], v[206:207]              // 000000008C90: D3B240CE 18039D0E
	v_pk_add_f32 v[206:207], v[16:17], v[206:207]              // 000000008C98: D3B240CE 18039D10
	v_pk_add_f32 v[206:207], v[18:19], v[206:207]              // 000000008CA0: D3B240CE 18039D12
	v_add_f32_e32 v206, v207, v206                             // 000000008CA8: 039D9DCF
	v_mul_f32_e32 v208, v202, v208                             // 000000008CAC: 0BA1A1CA
	v_mov_b32_e32 v209, 0                                      // 000000008CB0: 7FA20280
	v_pk_add_f32 v[208:209], v[20:21], v[208:209]              // 000000008CB4: D3B240D0 1803A114
	v_pk_add_f32 v[208:209], v[22:23], v[208:209]              // 000000008CBC: D3B240D0 1803A116
	v_pk_add_f32 v[208:209], v[24:25], v[208:209]              // 000000008CC4: D3B240D0 1803A118
	v_pk_add_f32 v[208:209], v[26:27], v[208:209]              // 000000008CCC: D3B240D0 1803A11A
	v_pk_add_f32 v[208:209], v[28:29], v[208:209]              // 000000008CD4: D3B240D0 1803A11C
	v_pk_add_f32 v[208:209], v[30:31], v[208:209]              // 000000008CDC: D3B240D0 1803A11E
	v_pk_add_f32 v[208:209], v[32:33], v[208:209]              // 000000008CE4: D3B240D0 1803A120
	v_pk_add_f32 v[208:209], v[34:35], v[208:209]              // 000000008CEC: D3B240D0 1803A122
	v_add_f32_e32 v208, v209, v208                             // 000000008CF4: 03A1A1D1
	v_mul_f32_e32 v210, v204, v210                             // 000000008CF8: 0BA5A5CC
	v_mov_b32_e32 v211, 0                                      // 000000008CFC: 7FA60280
	v_pk_add_f32 v[210:211], v[36:37], v[210:211]              // 000000008D00: D3B240D2 1803A524
	v_pk_add_f32 v[210:211], v[38:39], v[210:211]              // 000000008D08: D3B240D2 1803A526
	v_pk_add_f32 v[210:211], v[40:41], v[210:211]              // 000000008D10: D3B240D2 1803A528
	v_pk_add_f32 v[210:211], v[42:43], v[210:211]              // 000000008D18: D3B240D2 1803A52A
	v_add_f32_e32 v210, v211, v210                             // 000000008D20: 03A5A5D3
	ds_read_b128 v[172:175], v247 offset:4096                  // 000000008D24: D9FE1000 AC0000F7
	ds_read_b128 v[176:179], v247 offset:4352                  // 000000008D2C: D9FE1100 B00000F7
	ds_read_b128 v[180:183], v247 offset:4608                  // 000000008D34: D9FE1200 B40000F7
	ds_read_b128 v[184:187], v247 offset:4864                  // 000000008D3C: D9FE1300 B80000F7
	s_waitcnt lgkmcnt(0)                                       // 000000008D44: BF8CC07F
	v_max3_f32 v188, v172, v176, v188                          // 000000008D48: D1D300BC 06F361AC
	v_max3_f32 v189, v173, v177, v189                          // 000000008D50: D1D300BD 06F763AD
	v_max3_f32 v190, v174, v178, v190                          // 000000008D58: D1D300BE 06FB65AE
	v_max3_f32 v188, v180, v184, v188                          // 000000008D60: D1D300BC 06F371B4
	v_max3_f32 v189, v181, v185, v189                          // 000000008D68: D1D300BD 06F773B5
	v_max3_f32 v190, v182, v186, v190                          // 000000008D70: D1D300BE 06FB75B6
	v_rcp_f32_e32 v188, v188                                   // 000000008D78: 7F7845BC
	v_rcp_f32_e32 v189, v189                                   // 000000008D7C: 7F7A45BD
	v_rcp_f32_e32 v190, v190                                   // 000000008D80: 7F7C45BE
	v_mul_f32_e32 v188, 0x43700000, v188                       // 000000008D84: 0B7978FF 43700000
	v_mul_f32_e32 v189, 0x43700000, v189                       // 000000008D8C: 0B7B7AFF 43700000
	v_mul_f32_e32 v190, 0x43700000, v190                       // 000000008D94: 0B7D7CFF 43700000
	v_mov_b32_e32 v192, v190                                   // 000000008D9C: 7F8003BE
	v_mov_b32_e32 v193, v190                                   // 000000008DA0: 7F8203BE
	v_mov_b32_e32 v190, v189                                   // 000000008DA4: 7F7C03BD
	v_mov_b32_e32 v191, v189                                   // 000000008DA8: 7F7E03BD
	v_mov_b32_e32 v189, v188                                   // 000000008DAC: 7F7A03BC
	v_pk_mul_f32 v[4:5], v[188:189], v[52:53]                  // 000000008DB0: D3B14004 180269BC
	v_pk_mul_f32 v[6:7], v[188:189], v[54:55]                  // 000000008DB8: D3B14006 18026DBC
	v_pk_mul_f32 v[8:9], v[188:189], v[56:57]                  // 000000008DC0: D3B14008 180271BC
	v_pk_mul_f32 v[10:11], v[188:189], v[58:59]                // 000000008DC8: D3B1400A 180275BC
	v_pk_mul_f32 v[12:13], v[188:189], v[60:61]                // 000000008DD0: D3B1400C 180279BC
	v_pk_mul_f32 v[14:15], v[188:189], v[62:63]                // 000000008DD8: D3B1400E 18027DBC
	v_pk_mul_f32 v[16:17], v[188:189], v[64:65]                // 000000008DE0: D3B14010 180281BC
	v_pk_mul_f32 v[18:19], v[188:189], v[66:67]                // 000000008DE8: D3B14012 180285BC
	v_pk_mul_f32 v[20:21], v[190:191], v[68:69]                // 000000008DF0: D3B14014 180289BE
	v_pk_mul_f32 v[22:23], v[190:191], v[70:71]                // 000000008DF8: D3B14016 18028DBE
	v_pk_mul_f32 v[24:25], v[190:191], v[72:73]                // 000000008E00: D3B14018 180291BE
	v_pk_mul_f32 v[26:27], v[190:191], v[74:75]                // 000000008E08: D3B1401A 180295BE
	v_pk_mul_f32 v[28:29], v[190:191], v[76:77]                // 000000008E10: D3B1401C 180299BE
	v_pk_mul_f32 v[30:31], v[190:191], v[78:79]                // 000000008E18: D3B1401E 18029DBE
	v_pk_mul_f32 v[32:33], v[190:191], v[80:81]                // 000000008E20: D3B14020 1802A1BE
	v_pk_mul_f32 v[34:35], v[190:191], v[82:83]                // 000000008E28: D3B14022 1802A5BE
	v_pk_mul_f32 v[36:37], v[192:193], v[84:85]                // 000000008E30: D3B14024 1802A9C0
	v_pk_mul_f32 v[38:39], v[192:193], v[86:87]                // 000000008E38: D3B14026 1802ADC0
	v_pk_mul_f32 v[40:41], v[192:193], v[88:89]                // 000000008E40: D3B14028 1802B1C0
	v_pk_mul_f32 v[42:43], v[192:193], v[90:91]                // 000000008E48: D3B1402A 1802B5C0
	v_cvt_pk_fp8_f32 v4, v4, v5                                // 000000008E50: D2A20004 00020B04
	v_cvt_pk_fp8_f32 v4, v6, v7 op_sel:[0,0,1]                 // 000000008E58: D2A24004 00020F06
	v_cvt_pk_fp8_f32 v5, v8, v9                                // 000000008E60: D2A20005 00021308
	v_cvt_pk_fp8_f32 v5, v10, v11 op_sel:[0,0,1]               // 000000008E68: D2A24005 0002170A
	v_cvt_pk_fp8_f32 v6, v12, v13                              // 000000008E70: D2A20006 00021B0C
	v_cvt_pk_fp8_f32 v6, v14, v15 op_sel:[0,0,1]               // 000000008E78: D2A24006 00021F0E
	v_cvt_pk_fp8_f32 v7, v16, v17                              // 000000008E80: D2A20007 00022310
	v_cvt_pk_fp8_f32 v7, v18, v19 op_sel:[0,0,1]               // 000000008E88: D2A24007 00022712
	v_cvt_pk_fp8_f32 v8, v20, v21                              // 000000008E90: D2A20008 00022B14
	v_cvt_pk_fp8_f32 v8, v22, v23 op_sel:[0,0,1]               // 000000008E98: D2A24008 00022F16
	v_cvt_pk_fp8_f32 v9, v24, v25                              // 000000008EA0: D2A20009 00023318
	v_cvt_pk_fp8_f32 v9, v26, v27 op_sel:[0,0,1]               // 000000008EA8: D2A24009 0002371A
	v_cvt_pk_fp8_f32 v10, v28, v29                             // 000000008EB0: D2A2000A 00023B1C
	v_cvt_pk_fp8_f32 v10, v30, v31 op_sel:[0,0,1]              // 000000008EB8: D2A2400A 00023F1E
	v_cvt_pk_fp8_f32 v11, v32, v33                             // 000000008EC0: D2A2000B 00024320
	v_cvt_pk_fp8_f32 v11, v34, v35 op_sel:[0,0,1]              // 000000008EC8: D2A2400B 00024722
	v_cvt_pk_fp8_f32 v12, v36, v37                             // 000000008ED0: D2A2000C 00024B24
	v_cvt_pk_fp8_f32 v12, v38, v39 op_sel:[0,0,1]              // 000000008ED8: D2A2400C 00024F26
	v_cvt_pk_fp8_f32 v13, v40, v41                             // 000000008EE0: D2A2000D 00025328
	v_cvt_pk_fp8_f32 v13, v42, v43 op_sel:[0,0,1]              // 000000008EE8: D2A2400D 0002572A
	v_mov_b32_dpp v14, v12 row_shl:8 row_mask:0xf bank_mask:0xf bound_ctrl:1// 000000008EF0: 7E1C02FA FF09080C
	v_and_b32_e32 v12, v12, v224                               // 000000008EF8: 2619C10C
	v_mov_b32_dpp v15, v13 row_shl:8 row_mask:0xf bank_mask:0xf bound_ctrl:1// 000000008EFC: 7E1E02FA FF09080D
	v_and_b32_e32 v13, v13, v224                               // 000000008F04: 261BC10D
	ds_write_b32 v248, v4 offset:8192                          // 000000008F08: D81A2000 000004F8
	ds_write_b32 v248, v5 offset:9216                          // 000000008F10: D81A2400 000005F8
	ds_write_b32 v248, v6 offset:10240                         // 000000008F18: D81A2800 000006F8
	ds_write_b32 v248, v7 offset:11264                         // 000000008F20: D81A2C00 000007F8
	ds_write_b32 v248, v8 offset:12288                         // 000000008F28: D81A3000 000008F8
	ds_write_b32 v248, v9 offset:13312                         // 000000008F30: D81A3400 000009F8
	ds_write_b32 v248, v10 offset:14336                        // 000000008F38: D81A3800 00000AF8
	ds_write_b32 v248, v11 offset:15360                        // 000000008F40: D81A3C00 00000BF8
	ds_write_b32 v248, v12 offset:16384                        // 000000008F48: D81A4000 00000CF8
	ds_write_b32 v248, v13 offset:17408                        // 000000008F50: D81A4400 00000DF8
	ds_write_b32 v248, v14 offset:18432                        // 000000008F58: D81A4800 00000EF8
	ds_write_b32 v248, v15 offset:19456                        // 000000008F60: D81A4C00 00000FF8
	v_rcp_f32_e32 v158, v188                                   // 000000008F68: 7F3C45BC
	v_rcp_f32_e32 v160, v190                                   // 000000008F6C: 7F4045BE
	v_rcp_f32_e32 v162, v192                                   // 000000008F70: 7F4445C0
	v_mov_b32_e32 v159, v158                                   // 000000008F74: 7F3E039E
	v_mov_b32_e32 v161, v160                                   // 000000008F78: 7F4203A0
	v_mov_b32_e32 v163, v162                                   // 000000008F7C: 7F4603A2
	v_pk_add_f32 v[124:125], v[124:125], v[100:101]            // 000000008F80: D3B2407C 1802C97C
	v_pk_add_f32 v[126:127], v[126:127], v[102:103]            // 000000008F88: D3B2407E 1802CD7E
	v_pk_add_f32 v[128:129], v[128:129], v[104:105]            // 000000008F90: D3B24080 1802D180
	v_pk_add_f32 v[130:131], v[130:131], v[106:107]            // 000000008F98: D3B24082 1802D582
	v_pk_add_f32 v[132:133], v[132:133], v[108:109]            // 000000008FA0: D3B24084 1802D984
	v_pk_add_f32 v[134:135], v[134:135], v[110:111]            // 000000008FA8: D3B24086 1802DD86
	v_pk_add_f32 v[136:137], v[136:137], v[112:113]            // 000000008FB0: D3B24088 1802E188
	v_pk_add_f32 v[138:139], v[138:139], v[114:115]            // 000000008FB8: D3B2408A 1802E58A
	v_pk_add_f32 v[140:141], v[140:141], v[116:117]            // 000000008FC0: D3B2408C 1802E98C
	v_pk_add_f32 v[142:143], v[142:143], v[118:119]            // 000000008FC8: D3B2408E 1802ED8E
	v_pk_add_f32 v[144:145], v[144:145], v[120:121]            // 000000008FD0: D3B24090 1802F190
	v_pk_add_f32 v[146:147], v[146:147], v[122:123]            // 000000008FD8: D3B24092 1802F592
	s_waitcnt lgkmcnt(0)                                       // 000000008FE0: BF8CC07F
	s_barrier                                                  // 000000008FE4: BF8A0000
	ds_read_b128 v[4:7], v249 offset:8192                      // 000000008FE8: D9FE2000 040000F9
	ds_read_b128 v[8:11], v249 offset:9216                     // 000000008FF0: D9FE2400 080000F9
	ds_read_b128 v[12:15], v249 offset:10240                   // 000000008FF8: D9FE2800 0C0000F9
	ds_read_b128 v[16:19], v249 offset:11264                   // 000000009000: D9FE2C00 100000F9
	ds_read_b128 v[20:23], v249 offset:12288                   // 000000009008: D9FE3000 140000F9
	ds_read_b128 v[24:27], v249 offset:13312                   // 000000009010: D9FE3400 180000F9
	ds_read_b128 v[28:31], v249 offset:14336                   // 000000009018: D9FE3800 1C0000F9
	ds_read_b128 v[32:35], v249 offset:15360                   // 000000009020: D9FE3C00 200000F9
	ds_read_b128 v[36:39], v249 offset:16384                   // 000000009028: D9FE4000 240000F9
	ds_read_b128 v[40:43], v249 offset:17408                   // 000000009030: D9FE4400 280000F9
	ds_read_b128 v[44:47], v249 offset:18432                   // 000000009038: D9FE4800 2C0000F9
	ds_read_b128 v[48:51], v249 offset:19456                   // 000000009040: D9FE4C00 300000F9
	s_waitcnt vmcnt(10)                                        // 000000009048: BF8C0F7A
	s_waitcnt lgkmcnt(11)                                      // 00000000904C: BF8CCB7F
	v_mfma_f32_16x16x32_fp8_fp8 v[100:103], a[120:121], v[4:5], 0// 000000009050: D3F30064 0A020978
	v_mfma_f32_16x16x32_fp8_fp8 v[104:107], a[136:137], v[4:5], 0// 000000009058: D3F30068 0A020988
	v_mfma_f32_16x16x32_fp8_fp8 v[100:103], a[122:123], v[6:7], v[100:103]// 000000009060: D3F30064 0D920D7A
	buffer_load_dwordx4 a[88:91], v234, s[16:19], 0 offen      // 000000009068: E05C1000 808458EA
	v_mfma_f32_16x16x32_fp8_fp8 v[104:107], a[138:139], v[6:7], v[104:107]// 000000009070: D3F30068 0DA20D8A
	s_waitcnt lgkmcnt(10)                                      // 000000009078: BF8CCA7F
	v_mfma_f32_16x16x32_fp8_fp8 v[100:103], a[124:125], v[8:9], v[100:103]// 00000000907C: D3F30064 0D92117C
	v_mfma_f32_16x16x32_fp8_fp8 v[104:107], a[140:141], v[8:9], v[104:107]// 000000009084: D3F30068 0DA2118C
	v_mfma_f32_16x16x32_fp8_fp8 v[100:103], a[126:127], v[10:11], v[100:103]// 00000000908C: D3F30064 0D92157E
	buffer_load_dwordx4 a[92:95], v235, s[16:19], 0 offen      // 000000009094: E05C1000 80845CEB
	v_mfma_f32_16x16x32_fp8_fp8 v[104:107], a[142:143], v[10:11], v[104:107]// 00000000909C: D3F30068 0DA2158E
	s_waitcnt lgkmcnt(9)                                       // 0000000090A4: BF8CC97F
	v_mfma_f32_16x16x32_fp8_fp8 v[100:103], a[128:129], v[12:13], v[100:103]// 0000000090A8: D3F30064 0D921980
	v_mfma_f32_16x16x32_fp8_fp8 v[104:107], a[144:145], v[12:13], v[104:107]// 0000000090B0: D3F30068 0DA21990
	v_mfma_f32_16x16x32_fp8_fp8 v[100:103], a[130:131], v[14:15], v[100:103]// 0000000090B8: D3F30064 0D921D82
	buffer_load_dwordx4 a[96:99], v236, s[16:19], 0 offen      // 0000000090C0: E05C1000 808460EC
	v_mfma_f32_16x16x32_fp8_fp8 v[104:107], a[146:147], v[14:15], v[104:107]// 0000000090C8: D3F30068 0DA21D92
	s_waitcnt lgkmcnt(8)                                       // 0000000090D0: BF8CC87F
	v_mfma_f32_16x16x32_fp8_fp8 v[100:103], a[132:133], v[16:17], v[100:103]// 0000000090D4: D3F30064 0D922184
	v_mfma_f32_16x16x32_fp8_fp8 v[104:107], a[148:149], v[16:17], v[104:107]// 0000000090DC: D3F30068 0DA22194
	v_mfma_f32_16x16x32_fp8_fp8 v[100:103], a[134:135], v[18:19], v[100:103]// 0000000090E4: D3F30064 0D922586
	buffer_load_dwordx4 a[100:103], v237, s[16:19], 0 offen    // 0000000090EC: E05C1000 808464ED
	v_mfma_f32_16x16x32_fp8_fp8 v[104:107], a[150:151], v[18:19], v[104:107]// 0000000090F4: D3F30068 0DA22596
	s_waitcnt lgkmcnt(7)                                       // 0000000090FC: BF8CC77F
	v_mfma_f32_16x16x32_fp8_fp8 v[108:111], a[120:121], v[20:21], 0// 000000009100: D3F3006C 0A022978
	v_mfma_f32_16x16x32_fp8_fp8 v[112:115], a[136:137], v[20:21], 0// 000000009108: D3F30070 0A022988
	v_mfma_f32_16x16x32_fp8_fp8 v[108:111], a[122:123], v[22:23], v[108:111]// 000000009110: D3F3006C 0DB22D7A
	buffer_load_dwordx4 a[104:107], v234, s[16:19], 0 offen offset:1024// 000000009118: E05C1400 808468EA
	v_mfma_f32_16x16x32_fp8_fp8 v[112:115], a[138:139], v[22:23], v[112:115]// 000000009120: D3F30070 0DC22D8A
	s_waitcnt lgkmcnt(6)                                       // 000000009128: BF8CC67F
	v_mfma_f32_16x16x32_fp8_fp8 v[108:111], a[124:125], v[24:25], v[108:111]// 00000000912C: D3F3006C 0DB2317C
	v_mfma_f32_16x16x32_fp8_fp8 v[112:115], a[140:141], v[24:25], v[112:115]// 000000009134: D3F30070 0DC2318C
	v_mfma_f32_16x16x32_fp8_fp8 v[108:111], a[126:127], v[26:27], v[108:111]// 00000000913C: D3F3006C 0DB2357E
	buffer_load_dwordx4 a[108:111], v235, s[16:19], 0 offen offset:1024// 000000009144: E05C1400 80846CEB
	v_mfma_f32_16x16x32_fp8_fp8 v[112:115], a[142:143], v[26:27], v[112:115]// 00000000914C: D3F30070 0DC2358E
	s_waitcnt lgkmcnt(5)                                       // 000000009154: BF8CC57F
	v_mfma_f32_16x16x32_fp8_fp8 v[108:111], a[128:129], v[28:29], v[108:111]// 000000009158: D3F3006C 0DB23980
	v_mfma_f32_16x16x32_fp8_fp8 v[112:115], a[144:145], v[28:29], v[112:115]// 000000009160: D3F30070 0DC23990
	v_mfma_f32_16x16x32_fp8_fp8 v[108:111], a[130:131], v[30:31], v[108:111]// 000000009168: D3F3006C 0DB23D82
	buffer_load_dwordx4 a[112:115], v236, s[16:19], 0 offen offset:1024// 000000009170: E05C1400 808470EC
	v_mfma_f32_16x16x32_fp8_fp8 v[112:115], a[146:147], v[30:31], v[112:115]// 000000009178: D3F30070 0DC23D92
	s_waitcnt lgkmcnt(4)                                       // 000000009180: BF8CC47F
	v_mfma_f32_16x16x32_fp8_fp8 v[108:111], a[132:133], v[32:33], v[108:111]// 000000009184: D3F3006C 0DB24184
	v_mfma_f32_16x16x32_fp8_fp8 v[112:115], a[148:149], v[32:33], v[112:115]// 00000000918C: D3F30070 0DC24194
	v_mfma_f32_16x16x32_fp8_fp8 v[108:111], a[134:135], v[34:35], v[108:111]// 000000009194: D3F3006C 0DB24586
	buffer_load_dwordx4 a[116:119], v237, s[16:19], 0 offen offset:1024// 00000000919C: E05C1400 808474ED
	v_mfma_f32_16x16x32_fp8_fp8 v[112:115], a[150:151], v[34:35], v[112:115]// 0000000091A4: D3F30070 0DC24596
	s_waitcnt lgkmcnt(3)                                       // 0000000091AC: BF8CC37F
	v_mfma_f32_16x16x32_fp8_fp8 v[116:119], a[120:121], v[36:37], 0// 0000000091B0: D3F30074 0A024978
	v_mfma_f32_16x16x32_fp8_fp8 v[120:123], a[136:137], v[36:37], 0// 0000000091B8: D3F30078 0A024988
	v_mfma_f32_16x16x32_fp8_fp8 v[116:119], a[122:123], v[38:39], v[116:119]// 0000000091C0: D3F30074 0DD24D7A
	v_mfma_f32_16x16x32_fp8_fp8 v[120:123], a[138:139], v[38:39], v[120:123]// 0000000091C8: D3F30078 0DE24D8A
	s_waitcnt lgkmcnt(2)                                       // 0000000091D0: BF8CC27F
	v_mfma_f32_16x16x32_fp8_fp8 v[116:119], a[124:125], v[40:41], v[116:119]// 0000000091D4: D3F30074 0DD2517C
	v_mfma_f32_16x16x32_fp8_fp8 v[120:123], a[140:141], v[40:41], v[120:123]// 0000000091DC: D3F30078 0DE2518C
	v_mfma_f32_16x16x32_fp8_fp8 v[116:119], a[126:127], v[42:43], v[116:119]// 0000000091E4: D3F30074 0DD2557E
	v_mfma_f32_16x16x32_fp8_fp8 v[120:123], a[142:143], v[42:43], v[120:123]// 0000000091EC: D3F30078 0DE2558E
	s_waitcnt lgkmcnt(1)                                       // 0000000091F4: BF8CC17F
	v_mfma_f32_16x16x32_fp8_fp8 v[116:119], a[128:129], v[44:45], v[116:119]// 0000000091F8: D3F30074 0DD25980
	v_mfma_f32_16x16x32_fp8_fp8 v[120:123], a[144:145], v[44:45], v[120:123]// 000000009200: D3F30078 0DE25990
	v_mfma_f32_16x16x32_fp8_fp8 v[116:119], a[130:131], v[46:47], v[116:119]// 000000009208: D3F30074 0DD25D82
	v_mfma_f32_16x16x32_fp8_fp8 v[120:123], a[146:147], v[46:47], v[120:123]// 000000009210: D3F30078 0DE25D92
	s_waitcnt lgkmcnt(0)                                       // 000000009218: BF8CC07F
	v_mfma_f32_16x16x32_fp8_fp8 v[116:119], a[132:133], v[48:49], v[116:119]// 00000000921C: D3F30074 0DD26184
	v_mfma_f32_16x16x32_fp8_fp8 v[120:123], a[148:149], v[48:49], v[120:123]// 000000009224: D3F30078 0DE26194
	v_mfma_f32_16x16x32_fp8_fp8 v[116:119], a[134:135], v[50:51], v[116:119]// 00000000922C: D3F30074 0DD26586
	v_mfma_f32_16x16x32_fp8_fp8 v[120:123], a[150:151], v[50:51], v[120:123]// 000000009234: D3F30078 0DE26596
	s_addk_i32 s49, 0x100                                      // 00000000923C: B7310100
	s_cmp_lt_i32 s49, s50                                      // 000000009240: BF043231
	s_cbranch_scc0 label_2F79                                  // 000000009244: BF841327
	s_waitcnt vmcnt(10)                                        // 000000009248: BF8C0F7A
	v_mfma_f32_16x16x32_fp8_fp8 v[4:7], a[24:25], a[0:1], 0    // 00000000924C: D3F30004 1A020118
	s_add_u32 s12, s76, s64                                    // 000000009254: 800C404C
	s_addc_u32 s13, s77, 0                                     // 000000009258: 820D804D
	v_mfma_f32_16x16x32_fp8_fp8 v[4:7], a[26:27], a[2:3], v[4:7]// 00000000925C: D3F30004 1C12051A
	s_add_u32 s16, s78, s65                                    // 000000009264: 8010414E
	s_addc_u32 s17, s79, 0                                     // 000000009268: 8211804F
	v_mfma_f32_16x16x32_fp8_fp8 v[4:7], a[28:29], a[4:5], v[4:7]// 00000000926C: D3F30004 1C12091C
	buffer_load_dwordx4 a[56:59], v232, s[12:15], 0 offen      // 000000009274: E05C1000 808338E8
	v_mfma_f32_16x16x32_fp8_fp8 v[4:7], a[30:31], a[6:7], v[4:7]// 00000000927C: D3F30004 1C120D1E
	s_add_u32 s28, s80, s66                                    // 000000009284: 801C4250
	s_addc_u32 s29, s81, 0                                     // 000000009288: 821D8051
	v_mfma_f32_16x16x32_fp8_fp8 v[8:11], a[32:33], a[0:1], 0   // 00000000928C: D3F30008 1A020120
	s_add_u32 s32, s82, s66                                    // 000000009294: 80204252
	s_addc_u32 s33, s83, 0                                     // 000000009298: 82218053
	v_mfma_f32_16x16x32_fp8_fp8 v[8:11], a[34:35], a[2:3], v[8:11]// 00000000929C: D3F30008 1C220522
	s_mul_i32 s64, s61, s56                                    // 0000000092A4: 9240383D
	s_mov_b32 s65, s64                                         // 0000000092A8: BEC10040
	v_mfma_f32_16x16x32_fp8_fp8 v[8:11], a[36:37], a[4:5], v[8:11]// 0000000092AC: D3F30008 1C220924
	buffer_load_dwordx4 a[60:63], v233, s[12:15], 0 offen      // 0000000092B4: E05C1000 80833CE9
	v_mfma_f32_16x16x32_fp8_fp8 v[8:11], a[38:39], a[6:7], v[8:11]// 0000000092BC: D3F30008 1C220D26
	s_mul_i32 s66, s61, s58                                    // 0000000092C4: 92423A3D
	v_mfma_f32_16x16x32_fp8_fp8 v[12:15], a[40:41], a[0:1], 0  // 0000000092C8: D3F3000C 1A020128
	v_mfma_f32_16x16x32_fp8_fp8 v[12:15], a[42:43], a[2:3], v[12:15]// 0000000092D0: D3F3000C 1C32052A
	v_mfma_f32_16x16x32_fp8_fp8 v[12:15], a[44:45], a[4:5], v[12:15]// 0000000092D8: D3F3000C 1C32092C
	buffer_load_dwordx4 a[64:67], v232, s[12:15], 0 offen offset:1024// 0000000092E0: E05C1400 808340E8
	v_mfma_f32_16x16x32_fp8_fp8 v[12:15], a[46:47], a[6:7], v[12:15]// 0000000092E8: D3F3000C 1C320D2E
	v_mfma_f32_16x16x32_fp8_fp8 v[16:19], a[48:49], a[0:1], 0  // 0000000092F0: D3F30010 1A020130
	v_mfma_f32_16x16x32_fp8_fp8 v[16:19], a[50:51], a[2:3], v[16:19]// 0000000092F8: D3F30010 1C420532
	v_mfma_f32_16x16x32_fp8_fp8 v[16:19], a[52:53], a[4:5], v[16:19]// 000000009300: D3F30010 1C420934
	buffer_load_dwordx4 a[68:71], v233, s[12:15], 0 offen offset:1024// 000000009308: E05C1400 808344E9
	v_mfma_f32_16x16x32_fp8_fp8 v[16:19], a[54:55], a[6:7], v[16:19]// 000000009310: D3F30010 1C420D36
	v_mfma_f32_16x16x32_fp8_fp8 v[20:23], a[24:25], a[8:9], 0  // 000000009318: D3F30014 1A021118
	v_mfma_f32_16x16x32_fp8_fp8 v[20:23], a[26:27], a[10:11], v[20:23]// 000000009320: D3F30014 1C52151A
	v_mfma_f32_16x16x32_fp8_fp8 v[20:23], a[28:29], a[12:13], v[20:23]// 000000009328: D3F30014 1C52191C
	buffer_load_dwordx4 a[72:75], v232, s[12:15], 0 offen offset:2048// 000000009330: E05C1800 808348E8
	v_mfma_f32_16x16x32_fp8_fp8 v[20:23], a[30:31], a[14:15], v[20:23]// 000000009338: D3F30014 1C521D1E
	v_mfma_f32_16x16x32_fp8_fp8 v[24:27], a[32:33], a[8:9], 0  // 000000009340: D3F30018 1A021120
	v_mfma_f32_16x16x32_fp8_fp8 v[24:27], a[34:35], a[10:11], v[24:27]// 000000009348: D3F30018 1C621522
	v_mfma_f32_16x16x32_fp8_fp8 v[24:27], a[36:37], a[12:13], v[24:27]// 000000009350: D3F30018 1C621924
	buffer_load_dwordx4 a[76:79], v233, s[12:15], 0 offen offset:2048// 000000009358: E05C1800 80834CE9
	v_mfma_f32_16x16x32_fp8_fp8 v[24:27], a[38:39], a[14:15], v[24:27]// 000000009360: D3F30018 1C621D26
	v_mfma_f32_16x16x32_fp8_fp8 v[28:31], a[40:41], a[8:9], 0  // 000000009368: D3F3001C 1A021128
	v_mfma_f32_16x16x32_fp8_fp8 v[28:31], a[42:43], a[10:11], v[28:31]// 000000009370: D3F3001C 1C72152A
	v_mfma_f32_16x16x32_fp8_fp8 v[28:31], a[44:45], a[12:13], v[28:31]// 000000009378: D3F3001C 1C72192C
	buffer_load_dwordx4 a[80:83], v232, s[12:15], 0 offen offset:3072// 000000009380: E05C1C00 808350E8
	v_mfma_f32_16x16x32_fp8_fp8 v[28:31], a[46:47], a[14:15], v[28:31]// 000000009388: D3F3001C 1C721D2E
	v_mfma_f32_16x16x32_fp8_fp8 v[32:35], a[48:49], a[8:9], 0  // 000000009390: D3F30020 1A021130
	v_mfma_f32_16x16x32_fp8_fp8 v[32:35], a[50:51], a[10:11], v[32:35]// 000000009398: D3F30020 1C821532
	v_mfma_f32_16x16x32_fp8_fp8 v[32:35], a[52:53], a[12:13], v[32:35]// 0000000093A0: D3F30020 1C821934
	buffer_load_dwordx4 a[84:87], v233, s[12:15], 0 offen offset:3072// 0000000093A8: E05C1C00 808354E9
	v_mfma_f32_16x16x32_fp8_fp8 v[32:35], a[54:55], a[14:15], v[32:35]// 0000000093B0: D3F30020 1C821D36
	v_mfma_f32_16x16x32_fp8_fp8 v[36:39], a[24:25], a[16:17], 0// 0000000093B8: D3F30024 1A022118
	v_mfma_f32_16x16x32_fp8_fp8 v[36:39], a[26:27], a[18:19], v[36:39]// 0000000093C0: D3F30024 1C92251A
	v_mfma_f32_16x16x32_fp8_fp8 v[36:39], a[28:29], a[20:21], v[36:39]// 0000000093C8: D3F30024 1C92291C
	v_mfma_f32_16x16x32_fp8_fp8 v[36:39], a[30:31], a[22:23], v[36:39]// 0000000093D0: D3F30024 1C922D1E
	v_mfma_f32_16x16x32_fp8_fp8 v[40:43], a[32:33], a[16:17], 0// 0000000093D8: D3F30028 1A022120
	v_mfma_f32_16x16x32_fp8_fp8 v[40:43], a[34:35], a[18:19], v[40:43]// 0000000093E0: D3F30028 1CA22522
	v_mfma_f32_16x16x32_fp8_fp8 v[40:43], a[36:37], a[20:21], v[40:43]// 0000000093E8: D3F30028 1CA22924
	v_mfma_f32_16x16x32_fp8_fp8 v[40:43], a[38:39], a[22:23], v[40:43]// 0000000093F0: D3F30028 1CA22D26
	v_mfma_f32_16x16x32_fp8_fp8 v[44:47], a[40:41], a[16:17], 0// 0000000093F8: D3F3002C 1A022128
	v_mfma_f32_16x16x32_fp8_fp8 v[44:47], a[42:43], a[18:19], v[44:47]// 000000009400: D3F3002C 1CB2252A
	v_mfma_f32_16x16x32_fp8_fp8 v[44:47], a[44:45], a[20:21], v[44:47]// 000000009408: D3F3002C 1CB2292C
	v_mfma_f32_16x16x32_fp8_fp8 v[44:47], a[46:47], a[22:23], v[44:47]// 000000009410: D3F3002C 1CB22D2E
	v_mfma_f32_16x16x32_fp8_fp8 v[48:51], a[48:49], a[16:17], 0// 000000009418: D3F30030 1A022130
	v_mfma_f32_16x16x32_fp8_fp8 v[48:51], a[50:51], a[18:19], v[48:51]// 000000009420: D3F30030 1CC22532
	v_mfma_f32_16x16x32_fp8_fp8 v[48:51], a[52:53], a[20:21], v[48:51]// 000000009428: D3F30030 1CC22934
	v_mfma_f32_16x16x32_fp8_fp8 v[48:51], a[54:55], a[22:23], v[48:51]// 000000009430: D3F30030 1CC22D36
	s_waitcnt vmcnt(16)                                        // 000000009438: BF8C4F70
	v_or_b32_dpp v36, v44, v36 row_shr:8 row_mask:0xf bank_mask:0xf bound_ctrl:1// 00000000943C: 284848FA FF09182C
	v_or_b32_dpp v37, v45, v37 row_shr:8 row_mask:0xf bank_mask:0xf bound_ctrl:1// 000000009444: 284A4AFA FF09182D
	v_or_b32_dpp v38, v46, v38 row_shr:8 row_mask:0xf bank_mask:0xf bound_ctrl:1// 00000000944C: 284C4CFA FF09182E
	v_or_b32_dpp v39, v47, v39 row_shr:8 row_mask:0xf bank_mask:0xf bound_ctrl:1// 000000009454: 284E4EFA FF09182F
	v_or_b32_dpp v40, v48, v40 row_shr:8 row_mask:0xf bank_mask:0xf bound_ctrl:1// 00000000945C: 285050FA FF091830
	v_or_b32_dpp v41, v49, v41 row_shr:8 row_mask:0xf bank_mask:0xf bound_ctrl:1// 000000009464: 285252FA FF091831
	v_or_b32_dpp v42, v50, v42 row_shr:8 row_mask:0xf bank_mask:0xf bound_ctrl:1// 00000000946C: 285454FA FF091832
	v_or_b32_dpp v43, v51, v43 row_shr:8 row_mask:0xf bank_mask:0xf bound_ctrl:1// 000000009474: 285656FA FF091833
	v_mov_b32_dpp v168, v154 row_shr:4 row_mask:0xf bank_mask:0xf// 00000000947C: 7F5002FA FF01149A
	v_mov_b32_dpp v169, v154 row_shl:4 row_mask:0xf bank_mask:0xf// 000000009484: 7F5202FA FF01049A
	v_cndmask_b32_e64 v164, v154, v168, s[90:91]               // 00000000948C: D10000A4 016B519A
	v_cndmask_b32_e64 v165, v169, v154, s[90:91]               // 000000009494: D10000A5 016B35A9
	v_mov_b32_dpp v168, v156 row_shr:4 row_mask:0xf bank_mask:0xf// 00000000949C: 7F5002FA FF01149C
	v_mov_b32_dpp v169, v156 row_shl:4 row_mask:0xf bank_mask:0xf// 0000000094A4: 7F5202FA FF01049C
	v_cndmask_b32_e64 v166, v156, v168, s[90:91]               // 0000000094AC: D10000A6 016B519C
	v_cndmask_b32_e64 v167, v169, v156, s[90:91]               // 0000000094B4: D10000A7 016B39A9
	v_pk_mul_f32 v[4:5], v[148:149], v[4:5]                    // 0000000094BC: D3B14004 18020994
	v_pk_mul_f32 v[6:7], v[148:149], v[6:7]                    // 0000000094C4: D3B14006 18020D94
	v_pk_mul_f32 v[8:9], v[148:149], v[8:9]                    // 0000000094CC: D3B14008 18021194
	v_pk_mul_f32 v[10:11], v[148:149], v[10:11]                // 0000000094D4: D3B1400A 18021594
	v_pk_mul_f32 v[12:13], v[148:149], v[12:13]                // 0000000094DC: D3B1400C 18021994
	v_pk_mul_f32 v[14:15], v[148:149], v[14:15]                // 0000000094E4: D3B1400E 18021D94
	v_pk_mul_f32 v[16:17], v[148:149], v[16:17]                // 0000000094EC: D3B14010 18022194
	v_pk_mul_f32 v[18:19], v[148:149], v[18:19]                // 0000000094F4: D3B14012 18022594
	v_mul_f32_dpp v4, v154, v4 row_newbcast:0 row_mask:0xf bank_mask:0xf// 0000000094FC: 0A0808FA FF01509A
	v_mul_f32_dpp v5, v154, v5 row_newbcast:1 row_mask:0xf bank_mask:0xf// 000000009504: 0A0A0AFA FF01519A
	v_mul_f32_dpp v6, v154, v6 row_newbcast:2 row_mask:0xf bank_mask:0xf// 00000000950C: 0A0C0CFA FF01529A
	v_mul_f32_dpp v7, v154, v7 row_newbcast:3 row_mask:0xf bank_mask:0xf// 000000009514: 0A0E0EFA FF01539A
	v_mul_f32_dpp v8, v154, v8 row_newbcast:4 row_mask:0xf bank_mask:0xf// 00000000951C: 0A1010FA FF01549A
	v_mul_f32_dpp v9, v154, v9 row_newbcast:5 row_mask:0xf bank_mask:0xf// 000000009524: 0A1212FA FF01559A
	v_mul_f32_dpp v10, v154, v10 row_newbcast:6 row_mask:0xf bank_mask:0xf// 00000000952C: 0A1414FA FF01569A
	v_mul_f32_dpp v11, v154, v11 row_newbcast:7 row_mask:0xf bank_mask:0xf// 000000009534: 0A1616FA FF01579A
	v_mul_f32_dpp v12, v154, v12 row_newbcast:8 row_mask:0xf bank_mask:0xf// 00000000953C: 0A1818FA FF01589A
	v_mul_f32_dpp v13, v154, v13 row_newbcast:9 row_mask:0xf bank_mask:0xf// 000000009544: 0A1A1AFA FF01599A
	v_mul_f32_dpp v14, v154, v14 row_newbcast:10 row_mask:0xf bank_mask:0xf// 00000000954C: 0A1C1CFA FF015A9A
	v_mul_f32_dpp v15, v154, v15 row_newbcast:11 row_mask:0xf bank_mask:0xf// 000000009554: 0A1E1EFA FF015B9A
	v_mul_f32_dpp v16, v154, v16 row_newbcast:12 row_mask:0xf bank_mask:0xf// 00000000955C: 0A2020FA FF015C9A
	v_mul_f32_dpp v17, v154, v17 row_newbcast:13 row_mask:0xf bank_mask:0xf// 000000009564: 0A2222FA FF015D9A
	v_mul_f32_dpp v18, v154, v18 row_newbcast:14 row_mask:0xf bank_mask:0xf// 00000000956C: 0A2424FA FF015E9A
	v_mul_f32_dpp v19, v154, v19 row_newbcast:15 row_mask:0xf bank_mask:0xf// 000000009574: 0A2626FA FF015F9A
	v_pk_mul_f32 v[20:21], v[150:151], v[20:21]                // 00000000957C: D3B14014 18022996
	v_pk_mul_f32 v[22:23], v[150:151], v[22:23]                // 000000009584: D3B14016 18022D96
	v_pk_mul_f32 v[24:25], v[150:151], v[24:25]                // 00000000958C: D3B14018 18023196
	v_pk_mul_f32 v[26:27], v[150:151], v[26:27]                // 000000009594: D3B1401A 18023596
	v_pk_mul_f32 v[28:29], v[150:151], v[28:29]                // 00000000959C: D3B1401C 18023996
	v_pk_mul_f32 v[30:31], v[150:151], v[30:31]                // 0000000095A4: D3B1401E 18023D96
	v_pk_mul_f32 v[32:33], v[150:151], v[32:33]                // 0000000095AC: D3B14020 18024196
	v_pk_mul_f32 v[34:35], v[150:151], v[34:35]                // 0000000095B4: D3B14022 18024596
	v_mul_f32_dpp v20, v154, v20 row_newbcast:0 row_mask:0xf bank_mask:0xf// 0000000095BC: 0A2828FA FF01509A
	v_mul_f32_dpp v21, v154, v21 row_newbcast:1 row_mask:0xf bank_mask:0xf// 0000000095C4: 0A2A2AFA FF01519A
	v_mul_f32_dpp v22, v154, v22 row_newbcast:2 row_mask:0xf bank_mask:0xf// 0000000095CC: 0A2C2CFA FF01529A
	v_mul_f32_dpp v23, v154, v23 row_newbcast:3 row_mask:0xf bank_mask:0xf// 0000000095D4: 0A2E2EFA FF01539A
	v_mul_f32_dpp v24, v154, v24 row_newbcast:4 row_mask:0xf bank_mask:0xf// 0000000095DC: 0A3030FA FF01549A
	v_mul_f32_dpp v25, v154, v25 row_newbcast:5 row_mask:0xf bank_mask:0xf// 0000000095E4: 0A3232FA FF01559A
	v_mul_f32_dpp v26, v154, v26 row_newbcast:6 row_mask:0xf bank_mask:0xf// 0000000095EC: 0A3434FA FF01569A
	v_mul_f32_dpp v27, v154, v27 row_newbcast:7 row_mask:0xf bank_mask:0xf// 0000000095F4: 0A3636FA FF01579A
	v_mul_f32_dpp v28, v154, v28 row_newbcast:8 row_mask:0xf bank_mask:0xf// 0000000095FC: 0A3838FA FF01589A
	v_mul_f32_dpp v29, v154, v29 row_newbcast:9 row_mask:0xf bank_mask:0xf// 000000009604: 0A3A3AFA FF01599A
	v_mul_f32_dpp v30, v154, v30 row_newbcast:10 row_mask:0xf bank_mask:0xf// 00000000960C: 0A3C3CFA FF015A9A
	v_mul_f32_dpp v31, v154, v31 row_newbcast:11 row_mask:0xf bank_mask:0xf// 000000009614: 0A3E3EFA FF015B9A
	v_mul_f32_dpp v32, v154, v32 row_newbcast:12 row_mask:0xf bank_mask:0xf// 00000000961C: 0A4040FA FF015C9A
	v_mul_f32_dpp v33, v154, v33 row_newbcast:13 row_mask:0xf bank_mask:0xf// 000000009624: 0A4242FA FF015D9A
	v_mul_f32_dpp v34, v154, v34 row_newbcast:14 row_mask:0xf bank_mask:0xf// 00000000962C: 0A4444FA FF015E9A
	v_mul_f32_dpp v35, v154, v35 row_newbcast:15 row_mask:0xf bank_mask:0xf// 000000009634: 0A4646FA FF015F9A
	v_pk_mul_f32 v[36:37], v[152:153], v[36:37]                // 00000000963C: D3B14024 18024998
	v_pk_mul_f32 v[38:39], v[152:153], v[38:39]                // 000000009644: D3B14026 18024D98
	v_pk_mul_f32 v[40:41], v[152:153], v[40:41]                // 00000000964C: D3B14028 18025198
	v_pk_mul_f32 v[42:43], v[152:153], v[42:43]                // 000000009654: D3B1402A 18025598
	v_mul_f32_dpp v36, v164, v36 quad_perm:[0,0,0,0] row_mask:0xf bank_mask:0xf// 00000000965C: 0A4848FA FF0000A4
	v_mul_f32_dpp v37, v164, v37 quad_perm:[1,1,1,1] row_mask:0xf bank_mask:0xf// 000000009664: 0A4A4AFA FF0055A4
	v_mul_f32_dpp v38, v164, v38 quad_perm:[2,2,2,2] row_mask:0xf bank_mask:0xf// 00000000966C: 0A4C4CFA FF00AAA4
	v_mul_f32_dpp v39, v164, v39 quad_perm:[3,3,3,3] row_mask:0xf bank_mask:0xf// 000000009674: 0A4E4EFA FF00FFA4
	v_mul_f32_dpp v40, v165, v40 quad_perm:[0,0,0,0] row_mask:0xf bank_mask:0xf// 00000000967C: 0A5050FA FF0000A5
	v_mul_f32_dpp v41, v165, v41 quad_perm:[1,1,1,1] row_mask:0xf bank_mask:0xf// 000000009684: 0A5252FA FF0055A5
	v_mul_f32_dpp v42, v165, v42 quad_perm:[2,2,2,2] row_mask:0xf bank_mask:0xf// 00000000968C: 0A5454FA FF00AAA5
	v_mul_f32_dpp v43, v165, v43 quad_perm:[3,3,3,3] row_mask:0xf bank_mask:0xf// 000000009694: 0A5656FA FF00FFA5
	v_mov_b32_e32 v190, v36                                    // 00000000969C: 7F7C0324
	v_max3_f32 v190, v36, v37, v190                            // 0000000096A0: D1D300BE 06FA4B24
	v_max3_f32 v190, v38, v39, v190                            // 0000000096A8: D1D300BE 06FA4F26
	v_max3_f32 v190, v40, v41, v190                            // 0000000096B0: D1D300BE 06FA5328
	v_max3_f32 v190, v42, v43, v190                            // 0000000096B8: D1D300BE 06FA572A
	v_mov_b32_e32 v189, v20                                    // 0000000096C0: 7F7A0314
	v_max3_f32 v189, v20, v21, v189                            // 0000000096C4: D1D300BD 06F62B14
	v_max3_f32 v189, v22, v23, v189                            // 0000000096CC: D1D300BD 06F62F16
	v_max3_f32 v189, v24, v25, v189                            // 0000000096D4: D1D300BD 06F63318
	v_max3_f32 v189, v26, v27, v189                            // 0000000096DC: D1D300BD 06F6371A
	v_max3_f32 v189, v28, v29, v189                            // 0000000096E4: D1D300BD 06F63B1C
	v_max3_f32 v189, v30, v31, v189                            // 0000000096EC: D1D300BD 06F63F1E
	v_max3_f32 v189, v32, v33, v189                            // 0000000096F4: D1D300BD 06F64320
	v_max3_f32 v189, v34, v35, v189                            // 0000000096FC: D1D300BD 06F64722
	v_mov_b32_e32 v188, v4                                     // 000000009704: 7F780304
	v_max3_f32 v188, v4, v5, v188                              // 000000009708: D1D300BC 06F20B04
	v_max3_f32 v188, v6, v7, v188                              // 000000009710: D1D300BC 06F20F06
	v_max3_f32 v188, v8, v9, v188                              // 000000009718: D1D300BC 06F21308
	v_max3_f32 v188, v10, v11, v188                            // 000000009720: D1D300BC 06F2170A
	v_max3_f32 v188, v12, v13, v188                            // 000000009728: D1D300BC 06F21B0C
	v_max3_f32 v188, v14, v15, v188                            // 000000009730: D1D300BC 06F21F0E
	v_max3_f32 v188, v16, v17, v188                            // 000000009738: D1D300BC 06F22310
	v_max3_f32 v188, v18, v19, v188                            // 000000009740: D1D300BC 06F22712
	v_max_f32_dpp v190, v190, v190 row_ror:8 row_mask:0xf bank_mask:0xf// 000000009748: 177D7CFA FF0128BE
	v_pk_mul_f32 v[124:125], v[200:201], v[124:125]            // 000000009750: D3B1407C 1802F9C8
	v_pk_mul_f32 v[126:127], v[200:201], v[126:127]            // 000000009758: D3B1407E 1802FDC8
	v_pk_mul_f32 v[128:129], v[200:201], v[128:129]            // 000000009760: D3B14080 180301C8
	v_pk_mul_f32 v[130:131], v[200:201], v[130:131]            // 000000009768: D3B14082 180305C8
	v_pk_mul_f32 v[132:133], v[202:203], v[132:133]            // 000000009770: D3B14084 180309CA
	v_pk_mul_f32 v[134:135], v[202:203], v[134:135]            // 000000009778: D3B14086 18030DCA
	v_pk_mul_f32 v[136:137], v[202:203], v[136:137]            // 000000009780: D3B14088 180311CA
	v_pk_mul_f32 v[138:139], v[202:203], v[138:139]            // 000000009788: D3B1408A 180315CA
	v_pk_mul_f32 v[140:141], v[204:205], v[140:141]            // 000000009790: D3B1408C 180319CC
	v_pk_mul_f32 v[142:143], v[204:205], v[142:143]            // 000000009798: D3B1408E 18031DCC
	v_pk_mul_f32 v[144:145], v[204:205], v[144:145]            // 0000000097A0: D3B14090 180321CC
	v_pk_mul_f32 v[146:147], v[204:205], v[146:147]            // 0000000097A8: D3B14092 180325CC
	ds_bpermute_b32 v172, v212, v188                           // 0000000097B0: D87E0000 AC00BCD4
	ds_bpermute_b32 v173, v213, v188                           // 0000000097B8: D87E0000 AD00BCD5
	ds_bpermute_b32 v174, v214, v188                           // 0000000097C0: D87E0000 AE00BCD6
	ds_bpermute_b32 v175, v212, v189                           // 0000000097C8: D87E0000 AF00BDD4
	ds_bpermute_b32 v176, v213, v189                           // 0000000097D0: D87E0000 B000BDD5
	ds_bpermute_b32 v177, v214, v189                           // 0000000097D8: D87E0000 B100BDD6
	ds_bpermute_b32 v178, v212, v190                           // 0000000097E0: D87E0000 B200BED4
	ds_bpermute_b32 v179, v213, v190                           // 0000000097E8: D87E0000 B300BED5
	ds_bpermute_b32 v180, v214, v190                           // 0000000097F0: D87E0000 B400BED6
	s_waitcnt lgkmcnt(6)                                       // 0000000097F8: BF8CC67F
	v_max3_f32 v188, v172, v173, v188                          // 0000000097FC: D1D300BC 06F35BAC
	v_max_f32_e32 v188, v174, v188                             // 000000009804: 177979AE
	s_waitcnt lgkmcnt(3)                                       // 000000009808: BF8CC37F
	v_max3_f32 v189, v175, v176, v189                          // 00000000980C: D1D300BD 06F761AF
	v_max_f32_e32 v189, v177, v189                             // 000000009814: 177B7BB1
	s_waitcnt lgkmcnt(0)                                       // 000000009818: BF8CC07F
	v_max3_f32 v190, v178, v179, v190                          // 00000000981C: D1D300BE 06FB67B2
	v_max_f32_e32 v190, v180, v190                             // 000000009824: 177D7DB4
	ds_write_b128 v246, v[188:191]                             // 000000009828: D9BE0000 0000BCF6
	s_waitcnt lgkmcnt(0)                                       // 000000009830: BF8CC07F
	s_barrier                                                  // 000000009834: BF8A0000
	v_pk_mul_f32 v[100:101], v[158:159], v[100:101]            // 000000009838: D3B14064 1802C99E
	v_pk_mul_f32 v[102:103], v[158:159], v[102:103]            // 000000009840: D3B14066 1802CD9E
	v_pk_mul_f32 v[104:105], v[158:159], v[104:105]            // 000000009848: D3B14068 1802D19E
	v_pk_mul_f32 v[106:107], v[158:159], v[106:107]            // 000000009850: D3B1406A 1802D59E
	v_pk_mul_f32 v[108:109], v[160:161], v[108:109]            // 000000009858: D3B1406C 1802D9A0
	v_pk_mul_f32 v[110:111], v[160:161], v[110:111]            // 000000009860: D3B1406E 1802DDA0
	v_pk_mul_f32 v[112:113], v[160:161], v[112:113]            // 000000009868: D3B14070 1802E1A0
	v_pk_mul_f32 v[114:115], v[160:161], v[114:115]            // 000000009870: D3B14072 1802E5A0
	v_pk_mul_f32 v[116:117], v[162:163], v[116:117]            // 000000009878: D3B14074 1802E9A2
	v_pk_mul_f32 v[118:119], v[162:163], v[118:119]            // 000000009880: D3B14076 1802EDA2
	v_pk_mul_f32 v[120:121], v[162:163], v[120:121]            // 000000009888: D3B14078 1802F1A2
	v_pk_mul_f32 v[122:123], v[162:163], v[122:123]            // 000000009890: D3B1407A 1802F5A2
	ds_read_b128 v[172:175], v247                              // 000000009898: D9FE0000 AC0000F7
	ds_read_b128 v[176:179], v247 offset:256                   // 0000000098A0: D9FE0100 B00000F7
	ds_read_b128 v[180:183], v247 offset:512                   // 0000000098A8: D9FE0200 B40000F7
	ds_read_b128 v[184:187], v247 offset:768                   // 0000000098B0: D9FE0300 B80000F7
	s_waitcnt lgkmcnt(0)                                       // 0000000098B8: BF8CC07F
	v_max3_f32 v188, v172, v176, v188                          // 0000000098BC: D1D300BC 06F361AC
	v_max3_f32 v189, v173, v177, v189                          // 0000000098C4: D1D300BD 06F763AD
	v_max3_f32 v190, v174, v178, v190                          // 0000000098CC: D1D300BE 06FB65AE
	v_max3_f32 v188, v180, v184, v188                          // 0000000098D4: D1D300BC 06F371B4
	v_max3_f32 v189, v181, v185, v189                          // 0000000098DC: D1D300BD 06F773B5
	v_max3_f32 v190, v182, v186, v190                          // 0000000098E4: D1D300BE 06FB75B6
	v_max_f32_e32 v197, v188, v194                             // 0000000098EC: 178B85BC
	v_mul_f32_e64 v168, -s51, v197                             // 0000000098F0: D10500A8 20038A33
	v_mov_b32_e32 v169, v168                                   // 0000000098F8: 7F5203A8
	v_pk_fma_f32 v[4:5], v[4:5], s[86:87], v[168:169]          // 0000000098FC: D3B04004 1EA0AD04
	v_pk_fma_f32 v[6:7], v[6:7], s[86:87], v[168:169]          // 000000009904: D3B04006 1EA0AD06
	v_exp_f32_e32 v4, v4                                       // 00000000990C: 7E084104
	v_exp_f32_e32 v5, v5                                       // 000000009910: 7E0A4105
	v_exp_f32_e32 v6, v6                                       // 000000009914: 7E0C4106
	v_exp_f32_e32 v7, v7                                       // 000000009918: 7E0E4107
	v_pk_fma_f32 v[8:9], v[8:9], s[86:87], v[168:169]          // 00000000991C: D3B04008 1EA0AD08
	v_pk_fma_f32 v[10:11], v[10:11], s[86:87], v[168:169]      // 000000009924: D3B0400A 1EA0AD0A
	v_exp_f32_e32 v8, v8                                       // 00000000992C: 7E104108
	v_exp_f32_e32 v9, v9                                       // 000000009930: 7E124109
	v_exp_f32_e32 v10, v10                                     // 000000009934: 7E14410A
	v_exp_f32_e32 v11, v11                                     // 000000009938: 7E16410B
	v_pk_fma_f32 v[12:13], v[12:13], s[86:87], v[168:169]      // 00000000993C: D3B0400C 1EA0AD0C
	v_pk_fma_f32 v[14:15], v[14:15], s[86:87], v[168:169]      // 000000009944: D3B0400E 1EA0AD0E
	v_exp_f32_e32 v12, v12                                     // 00000000994C: 7E18410C
	v_exp_f32_e32 v13, v13                                     // 000000009950: 7E1A410D
	v_exp_f32_e32 v14, v14                                     // 000000009954: 7E1C410E
	v_exp_f32_e32 v15, v15                                     // 000000009958: 7E1E410F
	v_pk_fma_f32 v[16:17], v[16:17], s[86:87], v[168:169]      // 00000000995C: D3B04010 1EA0AD10
	v_pk_fma_f32 v[18:19], v[18:19], s[86:87], v[168:169]      // 000000009964: D3B04012 1EA0AD12
	v_exp_f32_e32 v16, v16                                     // 00000000996C: 7E204110
	v_exp_f32_e32 v17, v17                                     // 000000009970: 7E224111
	v_exp_f32_e32 v18, v18                                     // 000000009974: 7E244112
	v_exp_f32_e32 v19, v19                                     // 000000009978: 7E264113
	v_max_f32_e32 v198, v189, v195                             // 00000000997C: 178D87BD
	v_mul_f32_e64 v168, -s51, v198                             // 000000009980: D10500A8 20038C33
	v_mov_b32_e32 v169, v168                                   // 000000009988: 7F5203A8
	v_pk_fma_f32 v[20:21], v[20:21], s[86:87], v[168:169]      // 00000000998C: D3B04014 1EA0AD14
	v_pk_fma_f32 v[22:23], v[22:23], s[86:87], v[168:169]      // 000000009994: D3B04016 1EA0AD16
	v_exp_f32_e32 v20, v20                                     // 00000000999C: 7E284114
	v_exp_f32_e32 v21, v21                                     // 0000000099A0: 7E2A4115
	v_exp_f32_e32 v22, v22                                     // 0000000099A4: 7E2C4116
	v_exp_f32_e32 v23, v23                                     // 0000000099A8: 7E2E4117
	v_pk_fma_f32 v[24:25], v[24:25], s[86:87], v[168:169]      // 0000000099AC: D3B04018 1EA0AD18
	v_pk_fma_f32 v[26:27], v[26:27], s[86:87], v[168:169]      // 0000000099B4: D3B0401A 1EA0AD1A
	v_exp_f32_e32 v24, v24                                     // 0000000099BC: 7E304118
	v_exp_f32_e32 v25, v25                                     // 0000000099C0: 7E324119
	v_exp_f32_e32 v26, v26                                     // 0000000099C4: 7E34411A
	v_exp_f32_e32 v27, v27                                     // 0000000099C8: 7E36411B
	v_pk_fma_f32 v[28:29], v[28:29], s[86:87], v[168:169]      // 0000000099CC: D3B0401C 1EA0AD1C
	v_pk_fma_f32 v[30:31], v[30:31], s[86:87], v[168:169]      // 0000000099D4: D3B0401E 1EA0AD1E
	v_exp_f32_e32 v28, v28                                     // 0000000099DC: 7E38411C
	v_exp_f32_e32 v29, v29                                     // 0000000099E0: 7E3A411D
	v_exp_f32_e32 v30, v30                                     // 0000000099E4: 7E3C411E
	v_exp_f32_e32 v31, v31                                     // 0000000099E8: 7E3E411F
	v_pk_fma_f32 v[32:33], v[32:33], s[86:87], v[168:169]      // 0000000099EC: D3B04020 1EA0AD20
	v_pk_fma_f32 v[34:35], v[34:35], s[86:87], v[168:169]      // 0000000099F4: D3B04022 1EA0AD22
	v_exp_f32_e32 v32, v32                                     // 0000000099FC: 7E404120
	v_exp_f32_e32 v33, v33                                     // 000000009A00: 7E424121
	v_exp_f32_e32 v34, v34                                     // 000000009A04: 7E444122
	v_exp_f32_e32 v35, v35                                     // 000000009A08: 7E464123
	v_max_f32_e32 v199, v190, v196                             // 000000009A0C: 178F89BE
	v_mul_f32_e64 v168, -s51, v199                             // 000000009A10: D10500A8 20038E33
	v_mov_b32_e32 v169, v168                                   // 000000009A18: 7F5203A8
	v_pk_fma_f32 v[36:37], v[36:37], s[86:87], v[168:169]      // 000000009A1C: D3B04024 1EA0AD24
	v_pk_fma_f32 v[38:39], v[38:39], s[86:87], v[168:169]      // 000000009A24: D3B04026 1EA0AD26
	v_exp_f32_e32 v36, v36                                     // 000000009A2C: 7E484124
	v_exp_f32_e32 v37, v37                                     // 000000009A30: 7E4A4125
	v_exp_f32_e32 v38, v38                                     // 000000009A34: 7E4C4126
	v_exp_f32_e32 v39, v39                                     // 000000009A38: 7E4E4127
	v_pk_fma_f32 v[40:41], v[40:41], s[86:87], v[168:169]      // 000000009A3C: D3B04028 1EA0AD28
	v_pk_fma_f32 v[42:43], v[42:43], s[86:87], v[168:169]      // 000000009A44: D3B0402A 1EA0AD2A
	v_exp_f32_e32 v40, v40                                     // 000000009A4C: 7E504128
	v_exp_f32_e32 v41, v41                                     // 000000009A50: 7E524129
	v_exp_f32_e32 v42, v42                                     // 000000009A54: 7E54412A
	v_exp_f32_e32 v43, v43                                     // 000000009A58: 7E56412B
	v_mul_f32_dpp v52, v156, v4 row_newbcast:0 row_mask:0xf bank_mask:0xf// 000000009A5C: 0A6808FA FF01509C
	v_mul_f32_dpp v53, v156, v5 row_newbcast:1 row_mask:0xf bank_mask:0xf// 000000009A64: 0A6A0AFA FF01519C
	v_mul_f32_dpp v54, v156, v6 row_newbcast:2 row_mask:0xf bank_mask:0xf// 000000009A6C: 0A6C0CFA FF01529C
	v_mul_f32_dpp v55, v156, v7 row_newbcast:3 row_mask:0xf bank_mask:0xf// 000000009A74: 0A6E0EFA FF01539C
	v_mul_f32_dpp v56, v156, v8 row_newbcast:4 row_mask:0xf bank_mask:0xf// 000000009A7C: 0A7010FA FF01549C
	v_mul_f32_dpp v57, v156, v9 row_newbcast:5 row_mask:0xf bank_mask:0xf// 000000009A84: 0A7212FA FF01559C
	v_mul_f32_dpp v58, v156, v10 row_newbcast:6 row_mask:0xf bank_mask:0xf// 000000009A8C: 0A7414FA FF01569C
	v_mul_f32_dpp v59, v156, v11 row_newbcast:7 row_mask:0xf bank_mask:0xf// 000000009A94: 0A7616FA FF01579C
	v_mul_f32_dpp v60, v156, v12 row_newbcast:8 row_mask:0xf bank_mask:0xf// 000000009A9C: 0A7818FA FF01589C
	v_mul_f32_dpp v61, v156, v13 row_newbcast:9 row_mask:0xf bank_mask:0xf// 000000009AA4: 0A7A1AFA FF01599C
	v_mul_f32_dpp v62, v156, v14 row_newbcast:10 row_mask:0xf bank_mask:0xf// 000000009AAC: 0A7C1CFA FF015A9C
	v_mul_f32_dpp v63, v156, v15 row_newbcast:11 row_mask:0xf bank_mask:0xf// 000000009AB4: 0A7E1EFA FF015B9C
	v_mul_f32_dpp v64, v156, v16 row_newbcast:12 row_mask:0xf bank_mask:0xf// 000000009ABC: 0A8020FA FF015C9C
	v_mul_f32_dpp v65, v156, v17 row_newbcast:13 row_mask:0xf bank_mask:0xf// 000000009AC4: 0A8222FA FF015D9C
	v_mul_f32_dpp v66, v156, v18 row_newbcast:14 row_mask:0xf bank_mask:0xf// 000000009ACC: 0A8424FA FF015E9C
	v_mul_f32_dpp v67, v156, v19 row_newbcast:15 row_mask:0xf bank_mask:0xf// 000000009AD4: 0A8626FA FF015F9C
	v_mul_f32_dpp v68, v156, v20 row_newbcast:0 row_mask:0xf bank_mask:0xf// 000000009ADC: 0A8828FA FF01509C
	v_mul_f32_dpp v69, v156, v21 row_newbcast:1 row_mask:0xf bank_mask:0xf// 000000009AE4: 0A8A2AFA FF01519C
	v_mul_f32_dpp v70, v156, v22 row_newbcast:2 row_mask:0xf bank_mask:0xf// 000000009AEC: 0A8C2CFA FF01529C
	v_mul_f32_dpp v71, v156, v23 row_newbcast:3 row_mask:0xf bank_mask:0xf// 000000009AF4: 0A8E2EFA FF01539C
	v_mul_f32_dpp v72, v156, v24 row_newbcast:4 row_mask:0xf bank_mask:0xf// 000000009AFC: 0A9030FA FF01549C
	v_mul_f32_dpp v73, v156, v25 row_newbcast:5 row_mask:0xf bank_mask:0xf// 000000009B04: 0A9232FA FF01559C
	v_mul_f32_dpp v74, v156, v26 row_newbcast:6 row_mask:0xf bank_mask:0xf// 000000009B0C: 0A9434FA FF01569C
	v_mul_f32_dpp v75, v156, v27 row_newbcast:7 row_mask:0xf bank_mask:0xf// 000000009B14: 0A9636FA FF01579C
	v_mul_f32_dpp v76, v156, v28 row_newbcast:8 row_mask:0xf bank_mask:0xf// 000000009B1C: 0A9838FA FF01589C
	v_mul_f32_dpp v77, v156, v29 row_newbcast:9 row_mask:0xf bank_mask:0xf// 000000009B24: 0A9A3AFA FF01599C
	v_mul_f32_dpp v78, v156, v30 row_newbcast:10 row_mask:0xf bank_mask:0xf// 000000009B2C: 0A9C3CFA FF015A9C
	v_mul_f32_dpp v79, v156, v31 row_newbcast:11 row_mask:0xf bank_mask:0xf// 000000009B34: 0A9E3EFA FF015B9C
	v_mul_f32_dpp v80, v156, v32 row_newbcast:12 row_mask:0xf bank_mask:0xf// 000000009B3C: 0AA040FA FF015C9C
	v_mul_f32_dpp v81, v156, v33 row_newbcast:13 row_mask:0xf bank_mask:0xf// 000000009B44: 0AA242FA FF015D9C
	v_mul_f32_dpp v82, v156, v34 row_newbcast:14 row_mask:0xf bank_mask:0xf// 000000009B4C: 0AA444FA FF015E9C
	v_mul_f32_dpp v83, v156, v35 row_newbcast:15 row_mask:0xf bank_mask:0xf// 000000009B54: 0AA646FA FF015F9C
	v_mul_f32_dpp v84, v166, v36 quad_perm:[0,0,0,0] row_mask:0xf bank_mask:0xf// 000000009B5C: 0AA848FA FF0000A6
	v_mul_f32_dpp v85, v166, v37 quad_perm:[1,1,1,1] row_mask:0xf bank_mask:0xf// 000000009B64: 0AAA4AFA FF0055A6
	v_mul_f32_dpp v86, v166, v38 quad_perm:[2,2,2,2] row_mask:0xf bank_mask:0xf// 000000009B6C: 0AAC4CFA FF00AAA6
	v_mul_f32_dpp v87, v166, v39 quad_perm:[3,3,3,3] row_mask:0xf bank_mask:0xf// 000000009B74: 0AAE4EFA FF00FFA6
	v_mul_f32_dpp v88, v167, v40 quad_perm:[0,0,0,0] row_mask:0xf bank_mask:0xf// 000000009B7C: 0AB050FA FF0000A7
	v_mul_f32_dpp v89, v167, v41 quad_perm:[1,1,1,1] row_mask:0xf bank_mask:0xf// 000000009B84: 0AB252FA FF0055A7
	v_mul_f32_dpp v90, v167, v42 quad_perm:[2,2,2,2] row_mask:0xf bank_mask:0xf// 000000009B8C: 0AB454FA FF00AAA7
	v_mul_f32_dpp v91, v167, v43 quad_perm:[3,3,3,3] row_mask:0xf bank_mask:0xf// 000000009B94: 0AB656FA FF00FFA7
	v_mov_b32_e32 v190, 0x358637bd                             // 000000009B9C: 7F7C02FF 358637BD
	v_max3_f32 v190, |v84|, |v85|, v190                        // 000000009BA4: D1D303BE 06FAAB54
	v_max3_f32 v190, |v86|, |v87|, v190                        // 000000009BAC: D1D303BE 06FAAF56
	v_max3_f32 v190, |v88|, |v89|, v190                        // 000000009BB4: D1D303BE 06FAB358
	v_max3_f32 v190, |v90|, |v91|, v190                        // 000000009BBC: D1D303BE 06FAB75A
	v_mov_b32_e32 v189, 0x358637bd                             // 000000009BC4: 7F7A02FF 358637BD
	v_max3_f32 v189, |v68|, |v69|, v189                        // 000000009BCC: D1D303BD 06F68B44
	v_max3_f32 v189, |v70|, |v71|, v189                        // 000000009BD4: D1D303BD 06F68F46
	v_max3_f32 v189, |v72|, |v73|, v189                        // 000000009BDC: D1D303BD 06F69348
	v_max3_f32 v189, |v74|, |v75|, v189                        // 000000009BE4: D1D303BD 06F6974A
	v_max3_f32 v189, |v76|, |v77|, v189                        // 000000009BEC: D1D303BD 06F69B4C
	v_max3_f32 v189, |v78|, |v79|, v189                        // 000000009BF4: D1D303BD 06F69F4E
	v_max3_f32 v189, |v80|, |v81|, v189                        // 000000009BFC: D1D303BD 06F6A350
	v_max3_f32 v189, |v82|, |v83|, v189                        // 000000009C04: D1D303BD 06F6A752
	v_mov_b32_e32 v188, 0x358637bd                             // 000000009C0C: 7F7802FF 358637BD
	v_max3_f32 v188, |v52|, |v53|, v188                        // 000000009C14: D1D303BC 06F26B34
	v_max3_f32 v188, |v54|, |v55|, v188                        // 000000009C1C: D1D303BC 06F26F36
	v_max3_f32 v188, |v56|, |v57|, v188                        // 000000009C24: D1D303BC 06F27338
	v_max3_f32 v188, |v58|, |v59|, v188                        // 000000009C2C: D1D303BC 06F2773A
	v_max3_f32 v188, |v60|, |v61|, v188                        // 000000009C34: D1D303BC 06F27B3C
	v_max3_f32 v188, |v62|, |v63|, v188                        // 000000009C3C: D1D303BC 06F27F3E
	v_max3_f32 v188, |v64|, |v65|, v188                        // 000000009C44: D1D303BC 06F28340
	v_max3_f32 v188, |v66|, |v67|, v188                        // 000000009C4C: D1D303BC 06F28742
	v_max_f32_dpp v190, v190, v190 row_ror:8 row_mask:0xf bank_mask:0xf// 000000009C54: 177D7CFA FF0128BE
	ds_bpermute_b32 v172, v212, v188                           // 000000009C5C: D87E0000 AC00BCD4
	ds_bpermute_b32 v173, v213, v188                           // 000000009C64: D87E0000 AD00BCD5
	ds_bpermute_b32 v174, v214, v188                           // 000000009C6C: D87E0000 AE00BCD6
	ds_bpermute_b32 v175, v212, v189                           // 000000009C74: D87E0000 AF00BDD4
	ds_bpermute_b32 v176, v213, v189                           // 000000009C7C: D87E0000 B000BDD5
	ds_bpermute_b32 v177, v214, v189                           // 000000009C84: D87E0000 B100BDD6
	ds_bpermute_b32 v178, v212, v190                           // 000000009C8C: D87E0000 B200BED4
	ds_bpermute_b32 v179, v213, v190                           // 000000009C94: D87E0000 B300BED5
	ds_bpermute_b32 v180, v214, v190                           // 000000009C9C: D87E0000 B400BED6
	s_waitcnt lgkmcnt(6)                                       // 000000009CA4: BF8CC67F
	v_max3_f32 v188, v172, v173, v188                          // 000000009CA8: D1D300BC 06F35BAC
	v_max_f32_e32 v188, v174, v188                             // 000000009CB0: 177979AE
	s_waitcnt lgkmcnt(3)                                       // 000000009CB4: BF8CC37F
	v_max3_f32 v189, v175, v176, v189                          // 000000009CB8: D1D300BD 06F761AF
	v_max_f32_e32 v189, v177, v189                             // 000000009CC0: 177B7BB1
	s_waitcnt lgkmcnt(0)                                       // 000000009CC4: BF8CC07F
	v_max3_f32 v190, v178, v179, v190                          // 000000009CC8: D1D300BE 06FB67B2
	v_max_f32_e32 v190, v180, v190                             // 000000009CD0: 177D7DB4
	ds_write_b128 v246, v[188:191] offset:4096                 // 000000009CD4: D9BE1000 0000BCF6
	buffer_load_dword v155, v238, s[28:31], 0 offen            // 000000009CDC: E0501000 80079BEE
	v_sub_f32_e32 v200, v194, v197                             // 000000009CE4: 05918BC2
	v_cmp_eq_u32_e64 s[84:85], v225, v194                      // 000000009CE8: D0CA0054 000385E1
	v_cndmask_b32_e64 v200, v200, 0, s[84:85]                  // 000000009CF0: D10000C8 015101C8
	v_mov_b32_e32 v194, v197                                   // 000000009CF8: 7F8403C5
	v_mul_f32_e32 v200, s51, v200                              // 000000009CFC: 0B919033
	v_exp_f32_e32 v200, v200                                   // 000000009D00: 7F9041C8
	v_sub_f32_e32 v202, v195, v198                             // 000000009D04: 05958DC3
	v_cmp_eq_u32_e64 s[84:85], v225, v195                      // 000000009D08: D0CA0054 000387E1
	v_cndmask_b32_e64 v202, v202, 0, s[84:85]                  // 000000009D10: D10000CA 015101CA
	v_mov_b32_e32 v195, v198                                   // 000000009D18: 7F8603C6
	v_mul_f32_e32 v202, s51, v202                              // 000000009D1C: 0B959433
	v_exp_f32_e32 v202, v202                                   // 000000009D20: 7F9441CA
	v_sub_f32_e32 v204, v196, v199                             // 000000009D24: 05998FC4
	v_cmp_eq_u32_e64 s[84:85], v225, v196                      // 000000009D28: D0CA0054 000389E1
	v_cndmask_b32_e64 v204, v204, 0, s[84:85]                  // 000000009D30: D10000CC 015101CC
	v_mov_b32_e32 v196, v199                                   // 000000009D38: 7F8803C7
	v_mul_f32_e32 v204, s51, v204                              // 000000009D3C: 0B999833
	v_exp_f32_e32 v204, v204                                   // 000000009D40: 7F9841CC
	v_mov_b32_e32 v201, v200                                   // 000000009D44: 7F9203C8
	v_mov_b32_e32 v203, v202                                   // 000000009D48: 7F9603CA
	v_mov_b32_e32 v205, v204                                   // 000000009D4C: 7F9A03CC
	s_waitcnt lgkmcnt(0)                                       // 000000009D50: BF8CC07F
	s_barrier                                                  // 000000009D54: BF8A0000
	buffer_load_dword v157, v239, s[32:35], 0 offen            // 000000009D58: E0501000 80089DEF
	v_mul_f32_e32 v206, v200, v206                             // 000000009D60: 0B9D9DC8
	v_mov_b32_e32 v207, 0                                      // 000000009D64: 7F9E0280
	v_pk_add_f32 v[206:207], v[4:5], v[206:207]                // 000000009D68: D3B240CE 18039D04
	v_pk_add_f32 v[206:207], v[6:7], v[206:207]                // 000000009D70: D3B240CE 18039D06
	v_pk_add_f32 v[206:207], v[8:9], v[206:207]                // 000000009D78: D3B240CE 18039D08
	v_pk_add_f32 v[206:207], v[10:11], v[206:207]              // 000000009D80: D3B240CE 18039D0A
	v_pk_add_f32 v[206:207], v[12:13], v[206:207]              // 000000009D88: D3B240CE 18039D0C
	v_pk_add_f32 v[206:207], v[14:15], v[206:207]              // 000000009D90: D3B240CE 18039D0E
	v_pk_add_f32 v[206:207], v[16:17], v[206:207]              // 000000009D98: D3B240CE 18039D10
	v_pk_add_f32 v[206:207], v[18:19], v[206:207]              // 000000009DA0: D3B240CE 18039D12
	v_add_f32_e32 v206, v207, v206                             // 000000009DA8: 039D9DCF
	v_mul_f32_e32 v208, v202, v208                             // 000000009DAC: 0BA1A1CA
	v_mov_b32_e32 v209, 0                                      // 000000009DB0: 7FA20280
	v_pk_add_f32 v[208:209], v[20:21], v[208:209]              // 000000009DB4: D3B240D0 1803A114
	v_pk_add_f32 v[208:209], v[22:23], v[208:209]              // 000000009DBC: D3B240D0 1803A116
	v_pk_add_f32 v[208:209], v[24:25], v[208:209]              // 000000009DC4: D3B240D0 1803A118
	v_pk_add_f32 v[208:209], v[26:27], v[208:209]              // 000000009DCC: D3B240D0 1803A11A
	v_pk_add_f32 v[208:209], v[28:29], v[208:209]              // 000000009DD4: D3B240D0 1803A11C
	v_pk_add_f32 v[208:209], v[30:31], v[208:209]              // 000000009DDC: D3B240D0 1803A11E
	v_pk_add_f32 v[208:209], v[32:33], v[208:209]              // 000000009DE4: D3B240D0 1803A120
	v_pk_add_f32 v[208:209], v[34:35], v[208:209]              // 000000009DEC: D3B240D0 1803A122
	v_add_f32_e32 v208, v209, v208                             // 000000009DF4: 03A1A1D1
	v_mul_f32_e32 v210, v204, v210                             // 000000009DF8: 0BA5A5CC
	v_mov_b32_e32 v211, 0                                      // 000000009DFC: 7FA60280
	v_pk_add_f32 v[210:211], v[36:37], v[210:211]              // 000000009E00: D3B240D2 1803A524
	v_pk_add_f32 v[210:211], v[38:39], v[210:211]              // 000000009E08: D3B240D2 1803A526
	v_pk_add_f32 v[210:211], v[40:41], v[210:211]              // 000000009E10: D3B240D2 1803A528
	v_pk_add_f32 v[210:211], v[42:43], v[210:211]              // 000000009E18: D3B240D2 1803A52A
	v_add_f32_e32 v210, v211, v210                             // 000000009E20: 03A5A5D3
	ds_read_b128 v[172:175], v247 offset:4096                  // 000000009E24: D9FE1000 AC0000F7
	ds_read_b128 v[176:179], v247 offset:4352                  // 000000009E2C: D9FE1100 B00000F7
	ds_read_b128 v[180:183], v247 offset:4608                  // 000000009E34: D9FE1200 B40000F7
	ds_read_b128 v[184:187], v247 offset:4864                  // 000000009E3C: D9FE1300 B80000F7
	s_waitcnt lgkmcnt(0)                                       // 000000009E44: BF8CC07F
	v_max3_f32 v188, v172, v176, v188                          // 000000009E48: D1D300BC 06F361AC
	v_max3_f32 v189, v173, v177, v189                          // 000000009E50: D1D300BD 06F763AD
	v_max3_f32 v190, v174, v178, v190                          // 000000009E58: D1D300BE 06FB65AE
	v_max3_f32 v188, v180, v184, v188                          // 000000009E60: D1D300BC 06F371B4
	v_max3_f32 v189, v181, v185, v189                          // 000000009E68: D1D300BD 06F773B5
	v_max3_f32 v190, v182, v186, v190                          // 000000009E70: D1D300BE 06FB75B6
	v_rcp_f32_e32 v188, v188                                   // 000000009E78: 7F7845BC
	v_rcp_f32_e32 v189, v189                                   // 000000009E7C: 7F7A45BD
	v_rcp_f32_e32 v190, v190                                   // 000000009E80: 7F7C45BE
	v_mul_f32_e32 v188, 0x43700000, v188                       // 000000009E84: 0B7978FF 43700000
	v_mul_f32_e32 v189, 0x43700000, v189                       // 000000009E8C: 0B7B7AFF 43700000
	v_mul_f32_e32 v190, 0x43700000, v190                       // 000000009E94: 0B7D7CFF 43700000
	v_mov_b32_e32 v192, v190                                   // 000000009E9C: 7F8003BE
	v_mov_b32_e32 v193, v190                                   // 000000009EA0: 7F8203BE
	v_mov_b32_e32 v190, v189                                   // 000000009EA4: 7F7C03BD
	v_mov_b32_e32 v191, v189                                   // 000000009EA8: 7F7E03BD
	v_mov_b32_e32 v189, v188                                   // 000000009EAC: 7F7A03BC
	v_pk_mul_f32 v[4:5], v[188:189], v[52:53]                  // 000000009EB0: D3B14004 180269BC
	v_pk_mul_f32 v[6:7], v[188:189], v[54:55]                  // 000000009EB8: D3B14006 18026DBC
	v_pk_mul_f32 v[8:9], v[188:189], v[56:57]                  // 000000009EC0: D3B14008 180271BC
	v_pk_mul_f32 v[10:11], v[188:189], v[58:59]                // 000000009EC8: D3B1400A 180275BC
	v_pk_mul_f32 v[12:13], v[188:189], v[60:61]                // 000000009ED0: D3B1400C 180279BC
	v_pk_mul_f32 v[14:15], v[188:189], v[62:63]                // 000000009ED8: D3B1400E 18027DBC
	v_pk_mul_f32 v[16:17], v[188:189], v[64:65]                // 000000009EE0: D3B14010 180281BC
	v_pk_mul_f32 v[18:19], v[188:189], v[66:67]                // 000000009EE8: D3B14012 180285BC
	v_pk_mul_f32 v[20:21], v[190:191], v[68:69]                // 000000009EF0: D3B14014 180289BE
	v_pk_mul_f32 v[22:23], v[190:191], v[70:71]                // 000000009EF8: D3B14016 18028DBE
	v_pk_mul_f32 v[24:25], v[190:191], v[72:73]                // 000000009F00: D3B14018 180291BE
	v_pk_mul_f32 v[26:27], v[190:191], v[74:75]                // 000000009F08: D3B1401A 180295BE
	v_pk_mul_f32 v[28:29], v[190:191], v[76:77]                // 000000009F10: D3B1401C 180299BE
	v_pk_mul_f32 v[30:31], v[190:191], v[78:79]                // 000000009F18: D3B1401E 18029DBE
	v_pk_mul_f32 v[32:33], v[190:191], v[80:81]                // 000000009F20: D3B14020 1802A1BE
	v_pk_mul_f32 v[34:35], v[190:191], v[82:83]                // 000000009F28: D3B14022 1802A5BE
	v_pk_mul_f32 v[36:37], v[192:193], v[84:85]                // 000000009F30: D3B14024 1802A9C0
	v_pk_mul_f32 v[38:39], v[192:193], v[86:87]                // 000000009F38: D3B14026 1802ADC0
	v_pk_mul_f32 v[40:41], v[192:193], v[88:89]                // 000000009F40: D3B14028 1802B1C0
	v_pk_mul_f32 v[42:43], v[192:193], v[90:91]                // 000000009F48: D3B1402A 1802B5C0
	v_cvt_pk_fp8_f32 v4, v4, v5                                // 000000009F50: D2A20004 00020B04
	v_cvt_pk_fp8_f32 v4, v6, v7 op_sel:[0,0,1]                 // 000000009F58: D2A24004 00020F06
	v_cvt_pk_fp8_f32 v5, v8, v9                                // 000000009F60: D2A20005 00021308
	v_cvt_pk_fp8_f32 v5, v10, v11 op_sel:[0,0,1]               // 000000009F68: D2A24005 0002170A
	v_cvt_pk_fp8_f32 v6, v12, v13                              // 000000009F70: D2A20006 00021B0C
	v_cvt_pk_fp8_f32 v6, v14, v15 op_sel:[0,0,1]               // 000000009F78: D2A24006 00021F0E
	v_cvt_pk_fp8_f32 v7, v16, v17                              // 000000009F80: D2A20007 00022310
	v_cvt_pk_fp8_f32 v7, v18, v19 op_sel:[0,0,1]               // 000000009F88: D2A24007 00022712
	v_cvt_pk_fp8_f32 v8, v20, v21                              // 000000009F90: D2A20008 00022B14
	v_cvt_pk_fp8_f32 v8, v22, v23 op_sel:[0,0,1]               // 000000009F98: D2A24008 00022F16
	v_cvt_pk_fp8_f32 v9, v24, v25                              // 000000009FA0: D2A20009 00023318
	v_cvt_pk_fp8_f32 v9, v26, v27 op_sel:[0,0,1]               // 000000009FA8: D2A24009 0002371A
	v_cvt_pk_fp8_f32 v10, v28, v29                             // 000000009FB0: D2A2000A 00023B1C
	v_cvt_pk_fp8_f32 v10, v30, v31 op_sel:[0,0,1]              // 000000009FB8: D2A2400A 00023F1E
	v_cvt_pk_fp8_f32 v11, v32, v33                             // 000000009FC0: D2A2000B 00024320
	v_cvt_pk_fp8_f32 v11, v34, v35 op_sel:[0,0,1]              // 000000009FC8: D2A2400B 00024722
	v_cvt_pk_fp8_f32 v12, v36, v37                             // 000000009FD0: D2A2000C 00024B24
	v_cvt_pk_fp8_f32 v12, v38, v39 op_sel:[0,0,1]              // 000000009FD8: D2A2400C 00024F26
	v_cvt_pk_fp8_f32 v13, v40, v41                             // 000000009FE0: D2A2000D 00025328
	v_cvt_pk_fp8_f32 v13, v42, v43 op_sel:[0,0,1]              // 000000009FE8: D2A2400D 0002572A
	v_mov_b32_dpp v14, v12 row_shl:8 row_mask:0xf bank_mask:0xf bound_ctrl:1// 000000009FF0: 7E1C02FA FF09080C
	v_and_b32_e32 v12, v12, v224                               // 000000009FF8: 2619C10C
	v_mov_b32_dpp v15, v13 row_shl:8 row_mask:0xf bank_mask:0xf bound_ctrl:1// 000000009FFC: 7E1E02FA FF09080D
	v_and_b32_e32 v13, v13, v224                               // 00000000A004: 261BC10D
	ds_write_b32 v248, v4 offset:8192                          // 00000000A008: D81A2000 000004F8
	ds_write_b32 v248, v5 offset:9216                          // 00000000A010: D81A2400 000005F8
	ds_write_b32 v248, v6 offset:10240                         // 00000000A018: D81A2800 000006F8
	ds_write_b32 v248, v7 offset:11264                         // 00000000A020: D81A2C00 000007F8
	ds_write_b32 v248, v8 offset:12288                         // 00000000A028: D81A3000 000008F8
	ds_write_b32 v248, v9 offset:13312                         // 00000000A030: D81A3400 000009F8
	ds_write_b32 v248, v10 offset:14336                        // 00000000A038: D81A3800 00000AF8
	ds_write_b32 v248, v11 offset:15360                        // 00000000A040: D81A3C00 00000BF8
	ds_write_b32 v248, v12 offset:16384                        // 00000000A048: D81A4000 00000CF8
	ds_write_b32 v248, v13 offset:17408                        // 00000000A050: D81A4400 00000DF8
	ds_write_b32 v248, v14 offset:18432                        // 00000000A058: D81A4800 00000EF8
	ds_write_b32 v248, v15 offset:19456                        // 00000000A060: D81A4C00 00000FF8
	v_rcp_f32_e32 v158, v188                                   // 00000000A068: 7F3C45BC
	v_rcp_f32_e32 v160, v190                                   // 00000000A06C: 7F4045BE
	v_rcp_f32_e32 v162, v192                                   // 00000000A070: 7F4445C0
	v_mov_b32_e32 v159, v158                                   // 00000000A074: 7F3E039E
	v_mov_b32_e32 v161, v160                                   // 00000000A078: 7F4203A0
	v_mov_b32_e32 v163, v162                                   // 00000000A07C: 7F4603A2
	v_pk_add_f32 v[124:125], v[124:125], v[100:101]            // 00000000A080: D3B2407C 1802C97C
	v_pk_add_f32 v[126:127], v[126:127], v[102:103]            // 00000000A088: D3B2407E 1802CD7E
	v_pk_add_f32 v[128:129], v[128:129], v[104:105]            // 00000000A090: D3B24080 1802D180
	v_pk_add_f32 v[130:131], v[130:131], v[106:107]            // 00000000A098: D3B24082 1802D582
	v_pk_add_f32 v[132:133], v[132:133], v[108:109]            // 00000000A0A0: D3B24084 1802D984
	v_pk_add_f32 v[134:135], v[134:135], v[110:111]            // 00000000A0A8: D3B24086 1802DD86
	v_pk_add_f32 v[136:137], v[136:137], v[112:113]            // 00000000A0B0: D3B24088 1802E188
	v_pk_add_f32 v[138:139], v[138:139], v[114:115]            // 00000000A0B8: D3B2408A 1802E58A
	v_pk_add_f32 v[140:141], v[140:141], v[116:117]            // 00000000A0C0: D3B2408C 1802E98C
	v_pk_add_f32 v[142:143], v[142:143], v[118:119]            // 00000000A0C8: D3B2408E 1802ED8E
	v_pk_add_f32 v[144:145], v[144:145], v[120:121]            // 00000000A0D0: D3B24090 1802F190
	v_pk_add_f32 v[146:147], v[146:147], v[122:123]            // 00000000A0D8: D3B24092 1802F592
	s_waitcnt lgkmcnt(0)                                       // 00000000A0E0: BF8CC07F
	s_barrier                                                  // 00000000A0E4: BF8A0000
	ds_read_b128 v[4:7], v249 offset:8192                      // 00000000A0E8: D9FE2000 040000F9
	ds_read_b128 v[8:11], v249 offset:9216                     // 00000000A0F0: D9FE2400 080000F9
	ds_read_b128 v[12:15], v249 offset:10240                   // 00000000A0F8: D9FE2800 0C0000F9
	ds_read_b128 v[16:19], v249 offset:11264                   // 00000000A100: D9FE2C00 100000F9
	ds_read_b128 v[20:23], v249 offset:12288                   // 00000000A108: D9FE3000 140000F9
	ds_read_b128 v[24:27], v249 offset:13312                   // 00000000A110: D9FE3400 180000F9
	ds_read_b128 v[28:31], v249 offset:14336                   // 00000000A118: D9FE3800 1C0000F9
	ds_read_b128 v[32:35], v249 offset:15360                   // 00000000A120: D9FE3C00 200000F9
	ds_read_b128 v[36:39], v249 offset:16384                   // 00000000A128: D9FE4000 240000F9
	ds_read_b128 v[40:43], v249 offset:17408                   // 00000000A130: D9FE4400 280000F9
	ds_read_b128 v[44:47], v249 offset:18432                   // 00000000A138: D9FE4800 2C0000F9
	ds_read_b128 v[48:51], v249 offset:19456                   // 00000000A140: D9FE4C00 300000F9
	s_waitcnt vmcnt(10)                                        // 00000000A148: BF8C0F7A
	s_waitcnt lgkmcnt(11)                                      // 00000000A14C: BF8CCB7F
	v_mfma_f32_16x16x32_fp8_fp8 v[100:103], a[88:89], v[4:5], 0// 00000000A150: D3F30064 0A020958
	v_mfma_f32_16x16x32_fp8_fp8 v[104:107], a[104:105], v[4:5], 0// 00000000A158: D3F30068 0A020968
	v_mfma_f32_16x16x32_fp8_fp8 v[100:103], a[90:91], v[6:7], v[100:103]// 00000000A160: D3F30064 0D920D5A
	buffer_load_dwordx4 a[120:123], v234, s[16:19], 0 offen    // 00000000A168: E05C1000 808478EA
	v_mfma_f32_16x16x32_fp8_fp8 v[104:107], a[106:107], v[6:7], v[104:107]// 00000000A170: D3F30068 0DA20D6A
	s_waitcnt lgkmcnt(10)                                      // 00000000A178: BF8CCA7F
	v_mfma_f32_16x16x32_fp8_fp8 v[100:103], a[92:93], v[8:9], v[100:103]// 00000000A17C: D3F30064 0D92115C
	v_mfma_f32_16x16x32_fp8_fp8 v[104:107], a[108:109], v[8:9], v[104:107]// 00000000A184: D3F30068 0DA2116C
	v_mfma_f32_16x16x32_fp8_fp8 v[100:103], a[94:95], v[10:11], v[100:103]// 00000000A18C: D3F30064 0D92155E
	buffer_load_dwordx4 a[124:127], v235, s[16:19], 0 offen    // 00000000A194: E05C1000 80847CEB
	v_mfma_f32_16x16x32_fp8_fp8 v[104:107], a[110:111], v[10:11], v[104:107]// 00000000A19C: D3F30068 0DA2156E
	s_waitcnt lgkmcnt(9)                                       // 00000000A1A4: BF8CC97F
	v_mfma_f32_16x16x32_fp8_fp8 v[100:103], a[96:97], v[12:13], v[100:103]// 00000000A1A8: D3F30064 0D921960
	v_mfma_f32_16x16x32_fp8_fp8 v[104:107], a[112:113], v[12:13], v[104:107]// 00000000A1B0: D3F30068 0DA21970
	v_mfma_f32_16x16x32_fp8_fp8 v[100:103], a[98:99], v[14:15], v[100:103]// 00000000A1B8: D3F30064 0D921D62
	buffer_load_dwordx4 a[128:131], v236, s[16:19], 0 offen    // 00000000A1C0: E05C1000 808480EC
	v_mfma_f32_16x16x32_fp8_fp8 v[104:107], a[114:115], v[14:15], v[104:107]// 00000000A1C8: D3F30068 0DA21D72
	s_waitcnt lgkmcnt(8)                                       // 00000000A1D0: BF8CC87F
	v_mfma_f32_16x16x32_fp8_fp8 v[100:103], a[100:101], v[16:17], v[100:103]// 00000000A1D4: D3F30064 0D922164
	v_mfma_f32_16x16x32_fp8_fp8 v[104:107], a[116:117], v[16:17], v[104:107]// 00000000A1DC: D3F30068 0DA22174
	v_mfma_f32_16x16x32_fp8_fp8 v[100:103], a[102:103], v[18:19], v[100:103]// 00000000A1E4: D3F30064 0D922566
	buffer_load_dwordx4 a[132:135], v237, s[16:19], 0 offen    // 00000000A1EC: E05C1000 808484ED
	v_mfma_f32_16x16x32_fp8_fp8 v[104:107], a[118:119], v[18:19], v[104:107]// 00000000A1F4: D3F30068 0DA22576
	s_waitcnt lgkmcnt(7)                                       // 00000000A1FC: BF8CC77F
	v_mfma_f32_16x16x32_fp8_fp8 v[108:111], a[88:89], v[20:21], 0// 00000000A200: D3F3006C 0A022958
	v_mfma_f32_16x16x32_fp8_fp8 v[112:115], a[104:105], v[20:21], 0// 00000000A208: D3F30070 0A022968
	v_mfma_f32_16x16x32_fp8_fp8 v[108:111], a[90:91], v[22:23], v[108:111]// 00000000A210: D3F3006C 0DB22D5A
	buffer_load_dwordx4 a[136:139], v234, s[16:19], 0 offen offset:1024// 00000000A218: E05C1400 808488EA
	v_mfma_f32_16x16x32_fp8_fp8 v[112:115], a[106:107], v[22:23], v[112:115]// 00000000A220: D3F30070 0DC22D6A
	s_waitcnt lgkmcnt(6)                                       // 00000000A228: BF8CC67F
	v_mfma_f32_16x16x32_fp8_fp8 v[108:111], a[92:93], v[24:25], v[108:111]// 00000000A22C: D3F3006C 0DB2315C
	v_mfma_f32_16x16x32_fp8_fp8 v[112:115], a[108:109], v[24:25], v[112:115]// 00000000A234: D3F30070 0DC2316C
	v_mfma_f32_16x16x32_fp8_fp8 v[108:111], a[94:95], v[26:27], v[108:111]// 00000000A23C: D3F3006C 0DB2355E
	buffer_load_dwordx4 a[140:143], v235, s[16:19], 0 offen offset:1024// 00000000A244: E05C1400 80848CEB
	v_mfma_f32_16x16x32_fp8_fp8 v[112:115], a[110:111], v[26:27], v[112:115]// 00000000A24C: D3F30070 0DC2356E
	s_waitcnt lgkmcnt(5)                                       // 00000000A254: BF8CC57F
	v_mfma_f32_16x16x32_fp8_fp8 v[108:111], a[96:97], v[28:29], v[108:111]// 00000000A258: D3F3006C 0DB23960
	v_mfma_f32_16x16x32_fp8_fp8 v[112:115], a[112:113], v[28:29], v[112:115]// 00000000A260: D3F30070 0DC23970
	v_mfma_f32_16x16x32_fp8_fp8 v[108:111], a[98:99], v[30:31], v[108:111]// 00000000A268: D3F3006C 0DB23D62
	buffer_load_dwordx4 a[144:147], v236, s[16:19], 0 offen offset:1024// 00000000A270: E05C1400 808490EC
	v_mfma_f32_16x16x32_fp8_fp8 v[112:115], a[114:115], v[30:31], v[112:115]// 00000000A278: D3F30070 0DC23D72
	s_waitcnt lgkmcnt(4)                                       // 00000000A280: BF8CC47F
	v_mfma_f32_16x16x32_fp8_fp8 v[108:111], a[100:101], v[32:33], v[108:111]// 00000000A284: D3F3006C 0DB24164
	v_mfma_f32_16x16x32_fp8_fp8 v[112:115], a[116:117], v[32:33], v[112:115]// 00000000A28C: D3F30070 0DC24174
	v_mfma_f32_16x16x32_fp8_fp8 v[108:111], a[102:103], v[34:35], v[108:111]// 00000000A294: D3F3006C 0DB24566
	buffer_load_dwordx4 a[148:151], v237, s[16:19], 0 offen offset:1024// 00000000A29C: E05C1400 808494ED
	v_mfma_f32_16x16x32_fp8_fp8 v[112:115], a[118:119], v[34:35], v[112:115]// 00000000A2A4: D3F30070 0DC24576
	s_waitcnt lgkmcnt(3)                                       // 00000000A2AC: BF8CC37F
	v_mfma_f32_16x16x32_fp8_fp8 v[116:119], a[88:89], v[36:37], 0// 00000000A2B0: D3F30074 0A024958
	v_mfma_f32_16x16x32_fp8_fp8 v[120:123], a[104:105], v[36:37], 0// 00000000A2B8: D3F30078 0A024968
	v_mfma_f32_16x16x32_fp8_fp8 v[116:119], a[90:91], v[38:39], v[116:119]// 00000000A2C0: D3F30074 0DD24D5A
	v_mfma_f32_16x16x32_fp8_fp8 v[120:123], a[106:107], v[38:39], v[120:123]// 00000000A2C8: D3F30078 0DE24D6A
	s_waitcnt lgkmcnt(2)                                       // 00000000A2D0: BF8CC27F
	v_mfma_f32_16x16x32_fp8_fp8 v[116:119], a[92:93], v[40:41], v[116:119]// 00000000A2D4: D3F30074 0DD2515C
	v_mfma_f32_16x16x32_fp8_fp8 v[120:123], a[108:109], v[40:41], v[120:123]// 00000000A2DC: D3F30078 0DE2516C
	v_mfma_f32_16x16x32_fp8_fp8 v[116:119], a[94:95], v[42:43], v[116:119]// 00000000A2E4: D3F30074 0DD2555E
	v_mfma_f32_16x16x32_fp8_fp8 v[120:123], a[110:111], v[42:43], v[120:123]// 00000000A2EC: D3F30078 0DE2556E
	s_waitcnt lgkmcnt(1)                                       // 00000000A2F4: BF8CC17F
	v_mfma_f32_16x16x32_fp8_fp8 v[116:119], a[96:97], v[44:45], v[116:119]// 00000000A2F8: D3F30074 0DD25960
	v_mfma_f32_16x16x32_fp8_fp8 v[120:123], a[112:113], v[44:45], v[120:123]// 00000000A300: D3F30078 0DE25970
	v_mfma_f32_16x16x32_fp8_fp8 v[116:119], a[98:99], v[46:47], v[116:119]// 00000000A308: D3F30074 0DD25D62
	v_mfma_f32_16x16x32_fp8_fp8 v[120:123], a[114:115], v[46:47], v[120:123]// 00000000A310: D3F30078 0DE25D72
	s_waitcnt lgkmcnt(0)                                       // 00000000A318: BF8CC07F
	v_mfma_f32_16x16x32_fp8_fp8 v[116:119], a[100:101], v[48:49], v[116:119]// 00000000A31C: D3F30074 0DD26164
	v_mfma_f32_16x16x32_fp8_fp8 v[120:123], a[116:117], v[48:49], v[120:123]// 00000000A324: D3F30078 0DE26174
	v_mfma_f32_16x16x32_fp8_fp8 v[116:119], a[102:103], v[50:51], v[116:119]// 00000000A32C: D3F30074 0DD26566
	v_mfma_f32_16x16x32_fp8_fp8 v[120:123], a[118:119], v[50:51], v[120:123]// 00000000A334: D3F30078 0DE26576
	s_addk_i32 s49, 0x100                                      // 00000000A33C: B7310100
	s_cmp_lt_i32 s49, s50                                      // 00000000A340: BF043231
	s_cbranch_scc0 label_34C5                                  // 00000000A344: BF841433
	s_waitcnt vmcnt(10)                                        // 00000000A348: BF8C0F7A
	v_mfma_f32_16x16x32_fp8_fp8 v[4:7], a[56:57], a[0:1], 0    // 00000000A34C: D3F30004 1A020138
	s_add_u32 s12, s76, s64                                    // 00000000A354: 800C404C
	s_addc_u32 s13, s77, 0                                     // 00000000A358: 820D804D
	v_mfma_f32_16x16x32_fp8_fp8 v[4:7], a[58:59], a[2:3], v[4:7]// 00000000A35C: D3F30004 1C12053A
	s_add_u32 s16, s78, s65                                    // 00000000A364: 8010414E
	s_addc_u32 s17, s79, 0                                     // 00000000A368: 8211804F
	v_mfma_f32_16x16x32_fp8_fp8 v[4:7], a[60:61], a[4:5], v[4:7]// 00000000A36C: D3F30004 1C12093C
	buffer_load_dwordx4 a[24:27], v232, s[12:15], 0 offen      // 00000000A374: E05C1000 808318E8
	v_mfma_f32_16x16x32_fp8_fp8 v[4:7], a[62:63], a[6:7], v[4:7]// 00000000A37C: D3F30004 1C120D3E
	s_add_u32 s28, s80, s66                                    // 00000000A384: 801C4250
	s_addc_u32 s29, s81, 0                                     // 00000000A388: 821D8051
	v_mfma_f32_16x16x32_fp8_fp8 v[8:11], a[64:65], a[0:1], 0   // 00000000A38C: D3F30008 1A020140
	s_add_u32 s32, s82, s66                                    // 00000000A394: 80204252
	s_addc_u32 s33, s83, 0                                     // 00000000A398: 82218053
	v_mfma_f32_16x16x32_fp8_fp8 v[8:11], a[66:67], a[2:3], v[8:11]// 00000000A39C: D3F30008 1C220542
	s_add_u32 s64, s64, 0x1000                                 // 00000000A3A4: 8040FF40 00001000
	s_add_u32 s65, s65, 0x8000                                 // 00000000A3AC: 8041FF41 00008000
	v_mfma_f32_16x16x32_fp8_fp8 v[8:11], a[68:69], a[4:5], v[8:11]// 00000000A3B4: D3F30008 1C220944
	buffer_load_dwordx4 a[28:31], v233, s[12:15], 0 offen      // 00000000A3BC: E05C1000 80831CE9
	v_mfma_f32_16x16x32_fp8_fp8 v[8:11], a[70:71], a[6:7], v[8:11]// 00000000A3C4: D3F30008 1C220D46
	s_add_u32 s66, s66, 0x400                                  // 00000000A3CC: 8042FF42 00000400
	v_mfma_f32_16x16x32_fp8_fp8 v[12:15], a[72:73], a[0:1], 0  // 00000000A3D4: D3F3000C 1A020148
	v_mfma_f32_16x16x32_fp8_fp8 v[12:15], a[74:75], a[2:3], v[12:15]// 00000000A3DC: D3F3000C 1C32054A
	v_mfma_f32_16x16x32_fp8_fp8 v[12:15], a[76:77], a[4:5], v[12:15]// 00000000A3E4: D3F3000C 1C32094C
	buffer_load_dwordx4 a[32:35], v232, s[12:15], 0 offen offset:1024// 00000000A3EC: E05C1400 808320E8
	v_mfma_f32_16x16x32_fp8_fp8 v[12:15], a[78:79], a[6:7], v[12:15]// 00000000A3F4: D3F3000C 1C320D4E
	v_mfma_f32_16x16x32_fp8_fp8 v[16:19], a[80:81], a[0:1], 0  // 00000000A3FC: D3F30010 1A020150
	v_mfma_f32_16x16x32_fp8_fp8 v[16:19], a[82:83], a[2:3], v[16:19]// 00000000A404: D3F30010 1C420552
	v_mfma_f32_16x16x32_fp8_fp8 v[16:19], a[84:85], a[4:5], v[16:19]// 00000000A40C: D3F30010 1C420954
	buffer_load_dwordx4 a[36:39], v233, s[12:15], 0 offen offset:1024// 00000000A414: E05C1400 808324E9
	v_mfma_f32_16x16x32_fp8_fp8 v[16:19], a[86:87], a[6:7], v[16:19]// 00000000A41C: D3F30010 1C420D56
	v_mfma_f32_16x16x32_fp8_fp8 v[20:23], a[56:57], a[8:9], 0  // 00000000A424: D3F30014 1A021138
	v_mfma_f32_16x16x32_fp8_fp8 v[20:23], a[58:59], a[10:11], v[20:23]// 00000000A42C: D3F30014 1C52153A
	v_mfma_f32_16x16x32_fp8_fp8 v[20:23], a[60:61], a[12:13], v[20:23]// 00000000A434: D3F30014 1C52193C
	buffer_load_dwordx4 a[40:43], v232, s[12:15], 0 offen offset:2048// 00000000A43C: E05C1800 808328E8
	v_mfma_f32_16x16x32_fp8_fp8 v[20:23], a[62:63], a[14:15], v[20:23]// 00000000A444: D3F30014 1C521D3E
	v_mfma_f32_16x16x32_fp8_fp8 v[24:27], a[64:65], a[8:9], 0  // 00000000A44C: D3F30018 1A021140
	v_mfma_f32_16x16x32_fp8_fp8 v[24:27], a[66:67], a[10:11], v[24:27]// 00000000A454: D3F30018 1C621542
	v_mfma_f32_16x16x32_fp8_fp8 v[24:27], a[68:69], a[12:13], v[24:27]// 00000000A45C: D3F30018 1C621944
	buffer_load_dwordx4 a[44:47], v233, s[12:15], 0 offen offset:2048// 00000000A464: E05C1800 80832CE9
	v_mfma_f32_16x16x32_fp8_fp8 v[24:27], a[70:71], a[14:15], v[24:27]// 00000000A46C: D3F30018 1C621D46
	v_mfma_f32_16x16x32_fp8_fp8 v[28:31], a[72:73], a[8:9], 0  // 00000000A474: D3F3001C 1A021148
	v_mfma_f32_16x16x32_fp8_fp8 v[28:31], a[74:75], a[10:11], v[28:31]// 00000000A47C: D3F3001C 1C72154A
	v_mfma_f32_16x16x32_fp8_fp8 v[28:31], a[76:77], a[12:13], v[28:31]// 00000000A484: D3F3001C 1C72194C
	buffer_load_dwordx4 a[48:51], v232, s[12:15], 0 offen offset:3072// 00000000A48C: E05C1C00 808330E8
	v_mfma_f32_16x16x32_fp8_fp8 v[28:31], a[78:79], a[14:15], v[28:31]// 00000000A494: D3F3001C 1C721D4E
	v_mfma_f32_16x16x32_fp8_fp8 v[32:35], a[80:81], a[8:9], 0  // 00000000A49C: D3F30020 1A021150
	v_mfma_f32_16x16x32_fp8_fp8 v[32:35], a[82:83], a[10:11], v[32:35]// 00000000A4A4: D3F30020 1C821552
	v_mfma_f32_16x16x32_fp8_fp8 v[32:35], a[84:85], a[12:13], v[32:35]// 00000000A4AC: D3F30020 1C821954
	buffer_load_dwordx4 a[52:55], v233, s[12:15], 0 offen offset:3072// 00000000A4B4: E05C1C00 808334E9
	v_mfma_f32_16x16x32_fp8_fp8 v[32:35], a[86:87], a[14:15], v[32:35]// 00000000A4BC: D3F30020 1C821D56
	v_mfma_f32_16x16x32_fp8_fp8 v[36:39], a[56:57], a[16:17], 0// 00000000A4C4: D3F30024 1A022138
	v_mfma_f32_16x16x32_fp8_fp8 v[36:39], a[58:59], a[18:19], v[36:39]// 00000000A4CC: D3F30024 1C92253A
	v_mfma_f32_16x16x32_fp8_fp8 v[36:39], a[60:61], a[20:21], v[36:39]// 00000000A4D4: D3F30024 1C92293C
	v_mfma_f32_16x16x32_fp8_fp8 v[36:39], a[62:63], a[22:23], v[36:39]// 00000000A4DC: D3F30024 1C922D3E
	v_mfma_f32_16x16x32_fp8_fp8 v[40:43], a[64:65], a[16:17], 0// 00000000A4E4: D3F30028 1A022140
	v_mfma_f32_16x16x32_fp8_fp8 v[40:43], a[66:67], a[18:19], v[40:43]// 00000000A4EC: D3F30028 1CA22542
	v_mfma_f32_16x16x32_fp8_fp8 v[40:43], a[68:69], a[20:21], v[40:43]// 00000000A4F4: D3F30028 1CA22944
	v_mfma_f32_16x16x32_fp8_fp8 v[40:43], a[70:71], a[22:23], v[40:43]// 00000000A4FC: D3F30028 1CA22D46
	v_mfma_f32_16x16x32_fp8_fp8 v[44:47], a[72:73], a[16:17], 0// 00000000A504: D3F3002C 1A022148
	v_mfma_f32_16x16x32_fp8_fp8 v[44:47], a[74:75], a[18:19], v[44:47]// 00000000A50C: D3F3002C 1CB2254A
	v_mfma_f32_16x16x32_fp8_fp8 v[44:47], a[76:77], a[20:21], v[44:47]// 00000000A514: D3F3002C 1CB2294C
	v_mfma_f32_16x16x32_fp8_fp8 v[44:47], a[78:79], a[22:23], v[44:47]// 00000000A51C: D3F3002C 1CB22D4E
	v_mfma_f32_16x16x32_fp8_fp8 v[48:51], a[80:81], a[16:17], 0// 00000000A524: D3F30030 1A022150
	v_mfma_f32_16x16x32_fp8_fp8 v[48:51], a[82:83], a[18:19], v[48:51]// 00000000A52C: D3F30030 1CC22552
	v_mfma_f32_16x16x32_fp8_fp8 v[48:51], a[84:85], a[20:21], v[48:51]// 00000000A534: D3F30030 1CC22954
	v_mfma_f32_16x16x32_fp8_fp8 v[48:51], a[86:87], a[22:23], v[48:51]// 00000000A53C: D3F30030 1CC22D56
	s_waitcnt vmcnt(16)                                        // 00000000A544: BF8C4F70
	v_or_b32_dpp v36, v44, v36 row_shr:8 row_mask:0xf bank_mask:0xf bound_ctrl:1// 00000000A548: 284848FA FF09182C
	v_or_b32_dpp v37, v45, v37 row_shr:8 row_mask:0xf bank_mask:0xf bound_ctrl:1// 00000000A550: 284A4AFA FF09182D
	v_or_b32_dpp v38, v46, v38 row_shr:8 row_mask:0xf bank_mask:0xf bound_ctrl:1// 00000000A558: 284C4CFA FF09182E
	v_or_b32_dpp v39, v47, v39 row_shr:8 row_mask:0xf bank_mask:0xf bound_ctrl:1// 00000000A560: 284E4EFA FF09182F
	v_or_b32_dpp v40, v48, v40 row_shr:8 row_mask:0xf bank_mask:0xf bound_ctrl:1// 00000000A568: 285050FA FF091830
	v_or_b32_dpp v41, v49, v41 row_shr:8 row_mask:0xf bank_mask:0xf bound_ctrl:1// 00000000A570: 285252FA FF091831
	v_or_b32_dpp v42, v50, v42 row_shr:8 row_mask:0xf bank_mask:0xf bound_ctrl:1// 00000000A578: 285454FA FF091832
	v_or_b32_dpp v43, v51, v43 row_shr:8 row_mask:0xf bank_mask:0xf bound_ctrl:1// 00000000A580: 285656FA FF091833
	v_mov_b32_dpp v168, v155 row_shr:4 row_mask:0xf bank_mask:0xf// 00000000A588: 7F5002FA FF01149B
	v_mov_b32_dpp v169, v155 row_shl:4 row_mask:0xf bank_mask:0xf// 00000000A590: 7F5202FA FF01049B
	v_cndmask_b32_e64 v164, v155, v168, s[90:91]               // 00000000A598: D10000A4 016B519B
	v_cndmask_b32_e64 v165, v169, v155, s[90:91]               // 00000000A5A0: D10000A5 016B37A9
	v_mov_b32_dpp v168, v157 row_shr:4 row_mask:0xf bank_mask:0xf// 00000000A5A8: 7F5002FA FF01149D
	v_mov_b32_dpp v169, v157 row_shl:4 row_mask:0xf bank_mask:0xf// 00000000A5B0: 7F5202FA FF01049D
	v_cndmask_b32_e64 v166, v157, v168, s[90:91]               // 00000000A5B8: D10000A6 016B519D
	v_cndmask_b32_e64 v167, v169, v157, s[90:91]               // 00000000A5C0: D10000A7 016B3BA9
	v_pk_mul_f32 v[4:5], v[148:149], v[4:5]                    // 00000000A5C8: D3B14004 18020994
	v_pk_mul_f32 v[6:7], v[148:149], v[6:7]                    // 00000000A5D0: D3B14006 18020D94
	v_pk_mul_f32 v[8:9], v[148:149], v[8:9]                    // 00000000A5D8: D3B14008 18021194
	v_pk_mul_f32 v[10:11], v[148:149], v[10:11]                // 00000000A5E0: D3B1400A 18021594
	v_pk_mul_f32 v[12:13], v[148:149], v[12:13]                // 00000000A5E8: D3B1400C 18021994
	v_pk_mul_f32 v[14:15], v[148:149], v[14:15]                // 00000000A5F0: D3B1400E 18021D94
	v_pk_mul_f32 v[16:17], v[148:149], v[16:17]                // 00000000A5F8: D3B14010 18022194
	v_pk_mul_f32 v[18:19], v[148:149], v[18:19]                // 00000000A600: D3B14012 18022594
	v_mul_f32_dpp v4, v155, v4 row_newbcast:0 row_mask:0xf bank_mask:0xf// 00000000A608: 0A0808FA FF01509B
	v_mul_f32_dpp v5, v155, v5 row_newbcast:1 row_mask:0xf bank_mask:0xf// 00000000A610: 0A0A0AFA FF01519B
	v_mul_f32_dpp v6, v155, v6 row_newbcast:2 row_mask:0xf bank_mask:0xf// 00000000A618: 0A0C0CFA FF01529B
	v_mul_f32_dpp v7, v155, v7 row_newbcast:3 row_mask:0xf bank_mask:0xf// 00000000A620: 0A0E0EFA FF01539B
	v_mul_f32_dpp v8, v155, v8 row_newbcast:4 row_mask:0xf bank_mask:0xf// 00000000A628: 0A1010FA FF01549B
	v_mul_f32_dpp v9, v155, v9 row_newbcast:5 row_mask:0xf bank_mask:0xf// 00000000A630: 0A1212FA FF01559B
	v_mul_f32_dpp v10, v155, v10 row_newbcast:6 row_mask:0xf bank_mask:0xf// 00000000A638: 0A1414FA FF01569B
	v_mul_f32_dpp v11, v155, v11 row_newbcast:7 row_mask:0xf bank_mask:0xf// 00000000A640: 0A1616FA FF01579B
	v_mul_f32_dpp v12, v155, v12 row_newbcast:8 row_mask:0xf bank_mask:0xf// 00000000A648: 0A1818FA FF01589B
	v_mul_f32_dpp v13, v155, v13 row_newbcast:9 row_mask:0xf bank_mask:0xf// 00000000A650: 0A1A1AFA FF01599B
	v_mul_f32_dpp v14, v155, v14 row_newbcast:10 row_mask:0xf bank_mask:0xf// 00000000A658: 0A1C1CFA FF015A9B
	v_mul_f32_dpp v15, v155, v15 row_newbcast:11 row_mask:0xf bank_mask:0xf// 00000000A660: 0A1E1EFA FF015B9B
	v_mul_f32_dpp v16, v155, v16 row_newbcast:12 row_mask:0xf bank_mask:0xf// 00000000A668: 0A2020FA FF015C9B
	v_mul_f32_dpp v17, v155, v17 row_newbcast:13 row_mask:0xf bank_mask:0xf// 00000000A670: 0A2222FA FF015D9B
	v_mul_f32_dpp v18, v155, v18 row_newbcast:14 row_mask:0xf bank_mask:0xf// 00000000A678: 0A2424FA FF015E9B
	v_mul_f32_dpp v19, v155, v19 row_newbcast:15 row_mask:0xf bank_mask:0xf// 00000000A680: 0A2626FA FF015F9B
	v_pk_mul_f32 v[20:21], v[150:151], v[20:21]                // 00000000A688: D3B14014 18022996
	v_pk_mul_f32 v[22:23], v[150:151], v[22:23]                // 00000000A690: D3B14016 18022D96
	v_pk_mul_f32 v[24:25], v[150:151], v[24:25]                // 00000000A698: D3B14018 18023196
	v_pk_mul_f32 v[26:27], v[150:151], v[26:27]                // 00000000A6A0: D3B1401A 18023596
	v_pk_mul_f32 v[28:29], v[150:151], v[28:29]                // 00000000A6A8: D3B1401C 18023996
	v_pk_mul_f32 v[30:31], v[150:151], v[30:31]                // 00000000A6B0: D3B1401E 18023D96
	v_pk_mul_f32 v[32:33], v[150:151], v[32:33]                // 00000000A6B8: D3B14020 18024196
	v_pk_mul_f32 v[34:35], v[150:151], v[34:35]                // 00000000A6C0: D3B14022 18024596
	v_mul_f32_dpp v20, v155, v20 row_newbcast:0 row_mask:0xf bank_mask:0xf// 00000000A6C8: 0A2828FA FF01509B
	v_mul_f32_dpp v21, v155, v21 row_newbcast:1 row_mask:0xf bank_mask:0xf// 00000000A6D0: 0A2A2AFA FF01519B
	v_mul_f32_dpp v22, v155, v22 row_newbcast:2 row_mask:0xf bank_mask:0xf// 00000000A6D8: 0A2C2CFA FF01529B
	v_mul_f32_dpp v23, v155, v23 row_newbcast:3 row_mask:0xf bank_mask:0xf// 00000000A6E0: 0A2E2EFA FF01539B
	v_mul_f32_dpp v24, v155, v24 row_newbcast:4 row_mask:0xf bank_mask:0xf// 00000000A6E8: 0A3030FA FF01549B
	v_mul_f32_dpp v25, v155, v25 row_newbcast:5 row_mask:0xf bank_mask:0xf// 00000000A6F0: 0A3232FA FF01559B
	v_mul_f32_dpp v26, v155, v26 row_newbcast:6 row_mask:0xf bank_mask:0xf// 00000000A6F8: 0A3434FA FF01569B
	v_mul_f32_dpp v27, v155, v27 row_newbcast:7 row_mask:0xf bank_mask:0xf// 00000000A700: 0A3636FA FF01579B
	v_mul_f32_dpp v28, v155, v28 row_newbcast:8 row_mask:0xf bank_mask:0xf// 00000000A708: 0A3838FA FF01589B
	v_mul_f32_dpp v29, v155, v29 row_newbcast:9 row_mask:0xf bank_mask:0xf// 00000000A710: 0A3A3AFA FF01599B
	v_mul_f32_dpp v30, v155, v30 row_newbcast:10 row_mask:0xf bank_mask:0xf// 00000000A718: 0A3C3CFA FF015A9B
	v_mul_f32_dpp v31, v155, v31 row_newbcast:11 row_mask:0xf bank_mask:0xf// 00000000A720: 0A3E3EFA FF015B9B
	v_mul_f32_dpp v32, v155, v32 row_newbcast:12 row_mask:0xf bank_mask:0xf// 00000000A728: 0A4040FA FF015C9B
	v_mul_f32_dpp v33, v155, v33 row_newbcast:13 row_mask:0xf bank_mask:0xf// 00000000A730: 0A4242FA FF015D9B
	v_mul_f32_dpp v34, v155, v34 row_newbcast:14 row_mask:0xf bank_mask:0xf// 00000000A738: 0A4444FA FF015E9B
	v_mul_f32_dpp v35, v155, v35 row_newbcast:15 row_mask:0xf bank_mask:0xf// 00000000A740: 0A4646FA FF015F9B
	v_pk_mul_f32 v[36:37], v[152:153], v[36:37]                // 00000000A748: D3B14024 18024998
	v_pk_mul_f32 v[38:39], v[152:153], v[38:39]                // 00000000A750: D3B14026 18024D98
	v_pk_mul_f32 v[40:41], v[152:153], v[40:41]                // 00000000A758: D3B14028 18025198
	v_pk_mul_f32 v[42:43], v[152:153], v[42:43]                // 00000000A760: D3B1402A 18025598
	v_mul_f32_dpp v36, v164, v36 quad_perm:[0,0,0,0] row_mask:0xf bank_mask:0xf// 00000000A768: 0A4848FA FF0000A4
	v_mul_f32_dpp v37, v164, v37 quad_perm:[1,1,1,1] row_mask:0xf bank_mask:0xf// 00000000A770: 0A4A4AFA FF0055A4
	v_mul_f32_dpp v38, v164, v38 quad_perm:[2,2,2,2] row_mask:0xf bank_mask:0xf// 00000000A778: 0A4C4CFA FF00AAA4
	v_mul_f32_dpp v39, v164, v39 quad_perm:[3,3,3,3] row_mask:0xf bank_mask:0xf// 00000000A780: 0A4E4EFA FF00FFA4
	v_mul_f32_dpp v40, v165, v40 quad_perm:[0,0,0,0] row_mask:0xf bank_mask:0xf// 00000000A788: 0A5050FA FF0000A5
	v_mul_f32_dpp v41, v165, v41 quad_perm:[1,1,1,1] row_mask:0xf bank_mask:0xf// 00000000A790: 0A5252FA FF0055A5
	v_mul_f32_dpp v42, v165, v42 quad_perm:[2,2,2,2] row_mask:0xf bank_mask:0xf// 00000000A798: 0A5454FA FF00AAA5
	v_mul_f32_dpp v43, v165, v43 quad_perm:[3,3,3,3] row_mask:0xf bank_mask:0xf// 00000000A7A0: 0A5656FA FF00FFA5
	v_mov_b32_e32 v190, v36                                    // 00000000A7A8: 7F7C0324
	v_max3_f32 v190, v36, v37, v190                            // 00000000A7AC: D1D300BE 06FA4B24
	v_max3_f32 v190, v38, v39, v190                            // 00000000A7B4: D1D300BE 06FA4F26
	v_max3_f32 v190, v40, v41, v190                            // 00000000A7BC: D1D300BE 06FA5328
	v_max3_f32 v190, v42, v43, v190                            // 00000000A7C4: D1D300BE 06FA572A
	v_mov_b32_e32 v189, v20                                    // 00000000A7CC: 7F7A0314
	v_max3_f32 v189, v20, v21, v189                            // 00000000A7D0: D1D300BD 06F62B14
	v_max3_f32 v189, v22, v23, v189                            // 00000000A7D8: D1D300BD 06F62F16
	v_max3_f32 v189, v24, v25, v189                            // 00000000A7E0: D1D300BD 06F63318
	v_max3_f32 v189, v26, v27, v189                            // 00000000A7E8: D1D300BD 06F6371A
	v_max3_f32 v189, v28, v29, v189                            // 00000000A7F0: D1D300BD 06F63B1C
	v_max3_f32 v189, v30, v31, v189                            // 00000000A7F8: D1D300BD 06F63F1E
	v_max3_f32 v189, v32, v33, v189                            // 00000000A800: D1D300BD 06F64320
	v_max3_f32 v189, v34, v35, v189                            // 00000000A808: D1D300BD 06F64722
	v_mov_b32_e32 v188, v4                                     // 00000000A810: 7F780304
	v_max3_f32 v188, v4, v5, v188                              // 00000000A814: D1D300BC 06F20B04
	v_max3_f32 v188, v6, v7, v188                              // 00000000A81C: D1D300BC 06F20F06
	v_max3_f32 v188, v8, v9, v188                              // 00000000A824: D1D300BC 06F21308
	v_max3_f32 v188, v10, v11, v188                            // 00000000A82C: D1D300BC 06F2170A
	v_max3_f32 v188, v12, v13, v188                            // 00000000A834: D1D300BC 06F21B0C
	v_max3_f32 v188, v14, v15, v188                            // 00000000A83C: D1D300BC 06F21F0E
	v_max3_f32 v188, v16, v17, v188                            // 00000000A844: D1D300BC 06F22310
	v_max3_f32 v188, v18, v19, v188                            // 00000000A84C: D1D300BC 06F22712
	v_max_f32_dpp v190, v190, v190 row_ror:8 row_mask:0xf bank_mask:0xf// 00000000A854: 177D7CFA FF0128BE
	v_pk_mul_f32 v[124:125], v[200:201], v[124:125]            // 00000000A85C: D3B1407C 1802F9C8
	v_pk_mul_f32 v[126:127], v[200:201], v[126:127]            // 00000000A864: D3B1407E 1802FDC8
	v_pk_mul_f32 v[128:129], v[200:201], v[128:129]            // 00000000A86C: D3B14080 180301C8
	v_pk_mul_f32 v[130:131], v[200:201], v[130:131]            // 00000000A874: D3B14082 180305C8
	v_pk_mul_f32 v[132:133], v[202:203], v[132:133]            // 00000000A87C: D3B14084 180309CA
	v_pk_mul_f32 v[134:135], v[202:203], v[134:135]            // 00000000A884: D3B14086 18030DCA
	v_pk_mul_f32 v[136:137], v[202:203], v[136:137]            // 00000000A88C: D3B14088 180311CA
	v_pk_mul_f32 v[138:139], v[202:203], v[138:139]            // 00000000A894: D3B1408A 180315CA
	v_pk_mul_f32 v[140:141], v[204:205], v[140:141]            // 00000000A89C: D3B1408C 180319CC
	v_pk_mul_f32 v[142:143], v[204:205], v[142:143]            // 00000000A8A4: D3B1408E 18031DCC
	v_pk_mul_f32 v[144:145], v[204:205], v[144:145]            // 00000000A8AC: D3B14090 180321CC
	v_pk_mul_f32 v[146:147], v[204:205], v[146:147]            // 00000000A8B4: D3B14092 180325CC
	ds_bpermute_b32 v172, v212, v188                           // 00000000A8BC: D87E0000 AC00BCD4
	ds_bpermute_b32 v173, v213, v188                           // 00000000A8C4: D87E0000 AD00BCD5
	ds_bpermute_b32 v174, v214, v188                           // 00000000A8CC: D87E0000 AE00BCD6
	ds_bpermute_b32 v175, v212, v189                           // 00000000A8D4: D87E0000 AF00BDD4
	ds_bpermute_b32 v176, v213, v189                           // 00000000A8DC: D87E0000 B000BDD5
	ds_bpermute_b32 v177, v214, v189                           // 00000000A8E4: D87E0000 B100BDD6
	ds_bpermute_b32 v178, v212, v190                           // 00000000A8EC: D87E0000 B200BED4
	ds_bpermute_b32 v179, v213, v190                           // 00000000A8F4: D87E0000 B300BED5
	ds_bpermute_b32 v180, v214, v190                           // 00000000A8FC: D87E0000 B400BED6
	s_waitcnt lgkmcnt(6)                                       // 00000000A904: BF8CC67F
	v_max3_f32 v188, v172, v173, v188                          // 00000000A908: D1D300BC 06F35BAC
	v_max_f32_e32 v188, v174, v188                             // 00000000A910: 177979AE
	s_waitcnt lgkmcnt(3)                                       // 00000000A914: BF8CC37F
	v_max3_f32 v189, v175, v176, v189                          // 00000000A918: D1D300BD 06F761AF
	v_max_f32_e32 v189, v177, v189                             // 00000000A920: 177B7BB1
	s_waitcnt lgkmcnt(0)                                       // 00000000A924: BF8CC07F
	v_max3_f32 v190, v178, v179, v190                          // 00000000A928: D1D300BE 06FB67B2
	v_max_f32_e32 v190, v180, v190                             // 00000000A930: 177D7DB4
	ds_write_b128 v246, v[188:191]                             // 00000000A934: D9BE0000 0000BCF6
	s_waitcnt lgkmcnt(0)                                       // 00000000A93C: BF8CC07F
	s_barrier                                                  // 00000000A940: BF8A0000
	v_pk_mul_f32 v[100:101], v[158:159], v[100:101]            // 00000000A944: D3B14064 1802C99E
	v_pk_mul_f32 v[102:103], v[158:159], v[102:103]            // 00000000A94C: D3B14066 1802CD9E
	v_pk_mul_f32 v[104:105], v[158:159], v[104:105]            // 00000000A954: D3B14068 1802D19E
	v_pk_mul_f32 v[106:107], v[158:159], v[106:107]            // 00000000A95C: D3B1406A 1802D59E
	v_pk_mul_f32 v[108:109], v[160:161], v[108:109]            // 00000000A964: D3B1406C 1802D9A0
	v_pk_mul_f32 v[110:111], v[160:161], v[110:111]            // 00000000A96C: D3B1406E 1802DDA0
	v_pk_mul_f32 v[112:113], v[160:161], v[112:113]            // 00000000A974: D3B14070 1802E1A0
	v_pk_mul_f32 v[114:115], v[160:161], v[114:115]            // 00000000A97C: D3B14072 1802E5A0
	v_pk_mul_f32 v[116:117], v[162:163], v[116:117]            // 00000000A984: D3B14074 1802E9A2
	v_pk_mul_f32 v[118:119], v[162:163], v[118:119]            // 00000000A98C: D3B14076 1802EDA2
	v_pk_mul_f32 v[120:121], v[162:163], v[120:121]            // 00000000A994: D3B14078 1802F1A2
	v_pk_mul_f32 v[122:123], v[162:163], v[122:123]            // 00000000A99C: D3B1407A 1802F5A2
	ds_read_b128 v[172:175], v247                              // 00000000A9A4: D9FE0000 AC0000F7
	ds_read_b128 v[176:179], v247 offset:256                   // 00000000A9AC: D9FE0100 B00000F7
	ds_read_b128 v[180:183], v247 offset:512                   // 00000000A9B4: D9FE0200 B40000F7
	ds_read_b128 v[184:187], v247 offset:768                   // 00000000A9BC: D9FE0300 B80000F7
	s_waitcnt lgkmcnt(0)                                       // 00000000A9C4: BF8CC07F
	v_max3_f32 v188, v172, v176, v188                          // 00000000A9C8: D1D300BC 06F361AC
	v_max3_f32 v189, v173, v177, v189                          // 00000000A9D0: D1D300BD 06F763AD
	v_max3_f32 v190, v174, v178, v190                          // 00000000A9D8: D1D300BE 06FB65AE
	v_max3_f32 v188, v180, v184, v188                          // 00000000A9E0: D1D300BC 06F371B4
	v_max3_f32 v189, v181, v185, v189                          // 00000000A9E8: D1D300BD 06F773B5
	v_max3_f32 v190, v182, v186, v190                          // 00000000A9F0: D1D300BE 06FB75B6
	v_max_f32_e32 v197, v188, v194                             // 00000000A9F8: 178B85BC
	v_mul_f32_e64 v168, -s51, v197                             // 00000000A9FC: D10500A8 20038A33
	v_mov_b32_e32 v169, v168                                   // 00000000AA04: 7F5203A8
	v_pk_fma_f32 v[4:5], v[4:5], s[86:87], v[168:169]          // 00000000AA08: D3B04004 1EA0AD04
	v_pk_fma_f32 v[6:7], v[6:7], s[86:87], v[168:169]          // 00000000AA10: D3B04006 1EA0AD06
	v_exp_f32_e32 v4, v4                                       // 00000000AA18: 7E084104
	v_exp_f32_e32 v5, v5                                       // 00000000AA1C: 7E0A4105
	v_exp_f32_e32 v6, v6                                       // 00000000AA20: 7E0C4106
	v_exp_f32_e32 v7, v7                                       // 00000000AA24: 7E0E4107
	v_pk_fma_f32 v[8:9], v[8:9], s[86:87], v[168:169]          // 00000000AA28: D3B04008 1EA0AD08
	v_pk_fma_f32 v[10:11], v[10:11], s[86:87], v[168:169]      // 00000000AA30: D3B0400A 1EA0AD0A
	v_exp_f32_e32 v8, v8                                       // 00000000AA38: 7E104108
	v_exp_f32_e32 v9, v9                                       // 00000000AA3C: 7E124109
	v_exp_f32_e32 v10, v10                                     // 00000000AA40: 7E14410A
	v_exp_f32_e32 v11, v11                                     // 00000000AA44: 7E16410B
	v_pk_fma_f32 v[12:13], v[12:13], s[86:87], v[168:169]      // 00000000AA48: D3B0400C 1EA0AD0C
	v_pk_fma_f32 v[14:15], v[14:15], s[86:87], v[168:169]      // 00000000AA50: D3B0400E 1EA0AD0E
	v_exp_f32_e32 v12, v12                                     // 00000000AA58: 7E18410C
	v_exp_f32_e32 v13, v13                                     // 00000000AA5C: 7E1A410D
	v_exp_f32_e32 v14, v14                                     // 00000000AA60: 7E1C410E
	v_exp_f32_e32 v15, v15                                     // 00000000AA64: 7E1E410F
	v_pk_fma_f32 v[16:17], v[16:17], s[86:87], v[168:169]      // 00000000AA68: D3B04010 1EA0AD10
	v_pk_fma_f32 v[18:19], v[18:19], s[86:87], v[168:169]      // 00000000AA70: D3B04012 1EA0AD12
	v_exp_f32_e32 v16, v16                                     // 00000000AA78: 7E204110
	v_exp_f32_e32 v17, v17                                     // 00000000AA7C: 7E224111
	v_exp_f32_e32 v18, v18                                     // 00000000AA80: 7E244112
	v_exp_f32_e32 v19, v19                                     // 00000000AA84: 7E264113
	v_max_f32_e32 v198, v189, v195                             // 00000000AA88: 178D87BD
	v_mul_f32_e64 v168, -s51, v198                             // 00000000AA8C: D10500A8 20038C33
	v_mov_b32_e32 v169, v168                                   // 00000000AA94: 7F5203A8
	v_pk_fma_f32 v[20:21], v[20:21], s[86:87], v[168:169]      // 00000000AA98: D3B04014 1EA0AD14
	v_pk_fma_f32 v[22:23], v[22:23], s[86:87], v[168:169]      // 00000000AAA0: D3B04016 1EA0AD16
	v_exp_f32_e32 v20, v20                                     // 00000000AAA8: 7E284114
	v_exp_f32_e32 v21, v21                                     // 00000000AAAC: 7E2A4115
	v_exp_f32_e32 v22, v22                                     // 00000000AAB0: 7E2C4116
	v_exp_f32_e32 v23, v23                                     // 00000000AAB4: 7E2E4117
	v_pk_fma_f32 v[24:25], v[24:25], s[86:87], v[168:169]      // 00000000AAB8: D3B04018 1EA0AD18
	v_pk_fma_f32 v[26:27], v[26:27], s[86:87], v[168:169]      // 00000000AAC0: D3B0401A 1EA0AD1A
	v_exp_f32_e32 v24, v24                                     // 00000000AAC8: 7E304118
	v_exp_f32_e32 v25, v25                                     // 00000000AACC: 7E324119
	v_exp_f32_e32 v26, v26                                     // 00000000AAD0: 7E34411A
	v_exp_f32_e32 v27, v27                                     // 00000000AAD4: 7E36411B
	v_pk_fma_f32 v[28:29], v[28:29], s[86:87], v[168:169]      // 00000000AAD8: D3B0401C 1EA0AD1C
	v_pk_fma_f32 v[30:31], v[30:31], s[86:87], v[168:169]      // 00000000AAE0: D3B0401E 1EA0AD1E
	v_exp_f32_e32 v28, v28                                     // 00000000AAE8: 7E38411C
	v_exp_f32_e32 v29, v29                                     // 00000000AAEC: 7E3A411D
	v_exp_f32_e32 v30, v30                                     // 00000000AAF0: 7E3C411E
	v_exp_f32_e32 v31, v31                                     // 00000000AAF4: 7E3E411F
	v_pk_fma_f32 v[32:33], v[32:33], s[86:87], v[168:169]      // 00000000AAF8: D3B04020 1EA0AD20
	v_pk_fma_f32 v[34:35], v[34:35], s[86:87], v[168:169]      // 00000000AB00: D3B04022 1EA0AD22
	v_exp_f32_e32 v32, v32                                     // 00000000AB08: 7E404120
	v_exp_f32_e32 v33, v33                                     // 00000000AB0C: 7E424121
	v_exp_f32_e32 v34, v34                                     // 00000000AB10: 7E444122
	v_exp_f32_e32 v35, v35                                     // 00000000AB14: 7E464123
	v_max_f32_e32 v199, v190, v196                             // 00000000AB18: 178F89BE
	v_mul_f32_e64 v168, -s51, v199                             // 00000000AB1C: D10500A8 20038E33
	v_mov_b32_e32 v169, v168                                   // 00000000AB24: 7F5203A8
	v_pk_fma_f32 v[36:37], v[36:37], s[86:87], v[168:169]      // 00000000AB28: D3B04024 1EA0AD24
	v_pk_fma_f32 v[38:39], v[38:39], s[86:87], v[168:169]      // 00000000AB30: D3B04026 1EA0AD26
	v_exp_f32_e32 v36, v36                                     // 00000000AB38: 7E484124
	v_exp_f32_e32 v37, v37                                     // 00000000AB3C: 7E4A4125
	v_exp_f32_e32 v38, v38                                     // 00000000AB40: 7E4C4126
	v_exp_f32_e32 v39, v39                                     // 00000000AB44: 7E4E4127
	v_pk_fma_f32 v[40:41], v[40:41], s[86:87], v[168:169]      // 00000000AB48: D3B04028 1EA0AD28
	v_pk_fma_f32 v[42:43], v[42:43], s[86:87], v[168:169]      // 00000000AB50: D3B0402A 1EA0AD2A
	v_exp_f32_e32 v40, v40                                     // 00000000AB58: 7E504128
	v_exp_f32_e32 v41, v41                                     // 00000000AB5C: 7E524129
	v_exp_f32_e32 v42, v42                                     // 00000000AB60: 7E54412A
	v_exp_f32_e32 v43, v43                                     // 00000000AB64: 7E56412B
	v_mul_f32_dpp v52, v157, v4 row_newbcast:0 row_mask:0xf bank_mask:0xf// 00000000AB68: 0A6808FA FF01509D
	v_mul_f32_dpp v53, v157, v5 row_newbcast:1 row_mask:0xf bank_mask:0xf// 00000000AB70: 0A6A0AFA FF01519D
	v_mul_f32_dpp v54, v157, v6 row_newbcast:2 row_mask:0xf bank_mask:0xf// 00000000AB78: 0A6C0CFA FF01529D
	v_mul_f32_dpp v55, v157, v7 row_newbcast:3 row_mask:0xf bank_mask:0xf// 00000000AB80: 0A6E0EFA FF01539D
	v_mul_f32_dpp v56, v157, v8 row_newbcast:4 row_mask:0xf bank_mask:0xf// 00000000AB88: 0A7010FA FF01549D
	v_mul_f32_dpp v57, v157, v9 row_newbcast:5 row_mask:0xf bank_mask:0xf// 00000000AB90: 0A7212FA FF01559D
	v_mul_f32_dpp v58, v157, v10 row_newbcast:6 row_mask:0xf bank_mask:0xf// 00000000AB98: 0A7414FA FF01569D
	v_mul_f32_dpp v59, v157, v11 row_newbcast:7 row_mask:0xf bank_mask:0xf// 00000000ABA0: 0A7616FA FF01579D
	v_mul_f32_dpp v60, v157, v12 row_newbcast:8 row_mask:0xf bank_mask:0xf// 00000000ABA8: 0A7818FA FF01589D
	v_mul_f32_dpp v61, v157, v13 row_newbcast:9 row_mask:0xf bank_mask:0xf// 00000000ABB0: 0A7A1AFA FF01599D
	v_mul_f32_dpp v62, v157, v14 row_newbcast:10 row_mask:0xf bank_mask:0xf// 00000000ABB8: 0A7C1CFA FF015A9D
	v_mul_f32_dpp v63, v157, v15 row_newbcast:11 row_mask:0xf bank_mask:0xf// 00000000ABC0: 0A7E1EFA FF015B9D
	v_mul_f32_dpp v64, v157, v16 row_newbcast:12 row_mask:0xf bank_mask:0xf// 00000000ABC8: 0A8020FA FF015C9D
	v_mul_f32_dpp v65, v157, v17 row_newbcast:13 row_mask:0xf bank_mask:0xf// 00000000ABD0: 0A8222FA FF015D9D
	v_mul_f32_dpp v66, v157, v18 row_newbcast:14 row_mask:0xf bank_mask:0xf// 00000000ABD8: 0A8424FA FF015E9D
	v_mul_f32_dpp v67, v157, v19 row_newbcast:15 row_mask:0xf bank_mask:0xf// 00000000ABE0: 0A8626FA FF015F9D
	v_mul_f32_dpp v68, v157, v20 row_newbcast:0 row_mask:0xf bank_mask:0xf// 00000000ABE8: 0A8828FA FF01509D
	v_mul_f32_dpp v69, v157, v21 row_newbcast:1 row_mask:0xf bank_mask:0xf// 00000000ABF0: 0A8A2AFA FF01519D
	v_mul_f32_dpp v70, v157, v22 row_newbcast:2 row_mask:0xf bank_mask:0xf// 00000000ABF8: 0A8C2CFA FF01529D
	v_mul_f32_dpp v71, v157, v23 row_newbcast:3 row_mask:0xf bank_mask:0xf// 00000000AC00: 0A8E2EFA FF01539D
	v_mul_f32_dpp v72, v157, v24 row_newbcast:4 row_mask:0xf bank_mask:0xf// 00000000AC08: 0A9030FA FF01549D
	v_mul_f32_dpp v73, v157, v25 row_newbcast:5 row_mask:0xf bank_mask:0xf// 00000000AC10: 0A9232FA FF01559D
	v_mul_f32_dpp v74, v157, v26 row_newbcast:6 row_mask:0xf bank_mask:0xf// 00000000AC18: 0A9434FA FF01569D
	v_mul_f32_dpp v75, v157, v27 row_newbcast:7 row_mask:0xf bank_mask:0xf// 00000000AC20: 0A9636FA FF01579D
	v_mul_f32_dpp v76, v157, v28 row_newbcast:8 row_mask:0xf bank_mask:0xf// 00000000AC28: 0A9838FA FF01589D
	v_mul_f32_dpp v77, v157, v29 row_newbcast:9 row_mask:0xf bank_mask:0xf// 00000000AC30: 0A9A3AFA FF01599D
	v_mul_f32_dpp v78, v157, v30 row_newbcast:10 row_mask:0xf bank_mask:0xf// 00000000AC38: 0A9C3CFA FF015A9D
	v_mul_f32_dpp v79, v157, v31 row_newbcast:11 row_mask:0xf bank_mask:0xf// 00000000AC40: 0A9E3EFA FF015B9D
	v_mul_f32_dpp v80, v157, v32 row_newbcast:12 row_mask:0xf bank_mask:0xf// 00000000AC48: 0AA040FA FF015C9D
	v_mul_f32_dpp v81, v157, v33 row_newbcast:13 row_mask:0xf bank_mask:0xf// 00000000AC50: 0AA242FA FF015D9D
	v_mul_f32_dpp v82, v157, v34 row_newbcast:14 row_mask:0xf bank_mask:0xf// 00000000AC58: 0AA444FA FF015E9D
	v_mul_f32_dpp v83, v157, v35 row_newbcast:15 row_mask:0xf bank_mask:0xf// 00000000AC60: 0AA646FA FF015F9D
	v_mul_f32_dpp v84, v166, v36 quad_perm:[0,0,0,0] row_mask:0xf bank_mask:0xf// 00000000AC68: 0AA848FA FF0000A6
	v_mul_f32_dpp v85, v166, v37 quad_perm:[1,1,1,1] row_mask:0xf bank_mask:0xf// 00000000AC70: 0AAA4AFA FF0055A6
	v_mul_f32_dpp v86, v166, v38 quad_perm:[2,2,2,2] row_mask:0xf bank_mask:0xf// 00000000AC78: 0AAC4CFA FF00AAA6
	v_mul_f32_dpp v87, v166, v39 quad_perm:[3,3,3,3] row_mask:0xf bank_mask:0xf// 00000000AC80: 0AAE4EFA FF00FFA6
	v_mul_f32_dpp v88, v167, v40 quad_perm:[0,0,0,0] row_mask:0xf bank_mask:0xf// 00000000AC88: 0AB050FA FF0000A7
	v_mul_f32_dpp v89, v167, v41 quad_perm:[1,1,1,1] row_mask:0xf bank_mask:0xf// 00000000AC90: 0AB252FA FF0055A7
	v_mul_f32_dpp v90, v167, v42 quad_perm:[2,2,2,2] row_mask:0xf bank_mask:0xf// 00000000AC98: 0AB454FA FF00AAA7
	v_mul_f32_dpp v91, v167, v43 quad_perm:[3,3,3,3] row_mask:0xf bank_mask:0xf// 00000000ACA0: 0AB656FA FF00FFA7
	v_mov_b32_e32 v190, 0x358637bd                             // 00000000ACA8: 7F7C02FF 358637BD
	v_max3_f32 v190, |v84|, |v85|, v190                        // 00000000ACB0: D1D303BE 06FAAB54
	v_max3_f32 v190, |v86|, |v87|, v190                        // 00000000ACB8: D1D303BE 06FAAF56
	v_max3_f32 v190, |v88|, |v89|, v190                        // 00000000ACC0: D1D303BE 06FAB358
	v_max3_f32 v190, |v90|, |v91|, v190                        // 00000000ACC8: D1D303BE 06FAB75A
	v_mov_b32_e32 v189, 0x358637bd                             // 00000000ACD0: 7F7A02FF 358637BD
	v_max3_f32 v189, |v68|, |v69|, v189                        // 00000000ACD8: D1D303BD 06F68B44
	v_max3_f32 v189, |v70|, |v71|, v189                        // 00000000ACE0: D1D303BD 06F68F46
	v_max3_f32 v189, |v72|, |v73|, v189                        // 00000000ACE8: D1D303BD 06F69348
	v_max3_f32 v189, |v74|, |v75|, v189                        // 00000000ACF0: D1D303BD 06F6974A
	v_max3_f32 v189, |v76|, |v77|, v189                        // 00000000ACF8: D1D303BD 06F69B4C
	v_max3_f32 v189, |v78|, |v79|, v189                        // 00000000AD00: D1D303BD 06F69F4E
	v_max3_f32 v189, |v80|, |v81|, v189                        // 00000000AD08: D1D303BD 06F6A350
	v_max3_f32 v189, |v82|, |v83|, v189                        // 00000000AD10: D1D303BD 06F6A752
	v_mov_b32_e32 v188, 0x358637bd                             // 00000000AD18: 7F7802FF 358637BD
	v_max3_f32 v188, |v52|, |v53|, v188                        // 00000000AD20: D1D303BC 06F26B34
	v_max3_f32 v188, |v54|, |v55|, v188                        // 00000000AD28: D1D303BC 06F26F36
	v_max3_f32 v188, |v56|, |v57|, v188                        // 00000000AD30: D1D303BC 06F27338
	v_max3_f32 v188, |v58|, |v59|, v188                        // 00000000AD38: D1D303BC 06F2773A
	v_max3_f32 v188, |v60|, |v61|, v188                        // 00000000AD40: D1D303BC 06F27B3C
	v_max3_f32 v188, |v62|, |v63|, v188                        // 00000000AD48: D1D303BC 06F27F3E
	v_max3_f32 v188, |v64|, |v65|, v188                        // 00000000AD50: D1D303BC 06F28340
	v_max3_f32 v188, |v66|, |v67|, v188                        // 00000000AD58: D1D303BC 06F28742
	v_max_f32_dpp v190, v190, v190 row_ror:8 row_mask:0xf bank_mask:0xf// 00000000AD60: 177D7CFA FF0128BE
	ds_bpermute_b32 v172, v212, v188                           // 00000000AD68: D87E0000 AC00BCD4
	ds_bpermute_b32 v173, v213, v188                           // 00000000AD70: D87E0000 AD00BCD5
	ds_bpermute_b32 v174, v214, v188                           // 00000000AD78: D87E0000 AE00BCD6
	ds_bpermute_b32 v175, v212, v189                           // 00000000AD80: D87E0000 AF00BDD4
	ds_bpermute_b32 v176, v213, v189                           // 00000000AD88: D87E0000 B000BDD5
	ds_bpermute_b32 v177, v214, v189                           // 00000000AD90: D87E0000 B100BDD6
	ds_bpermute_b32 v178, v212, v190                           // 00000000AD98: D87E0000 B200BED4
	ds_bpermute_b32 v179, v213, v190                           // 00000000ADA0: D87E0000 B300BED5
	ds_bpermute_b32 v180, v214, v190                           // 00000000ADA8: D87E0000 B400BED6
	s_waitcnt lgkmcnt(6)                                       // 00000000ADB0: BF8CC67F
	v_max3_f32 v188, v172, v173, v188                          // 00000000ADB4: D1D300BC 06F35BAC
	v_max_f32_e32 v188, v174, v188                             // 00000000ADBC: 177979AE
	s_waitcnt lgkmcnt(3)                                       // 00000000ADC0: BF8CC37F
	v_max3_f32 v189, v175, v176, v189                          // 00000000ADC4: D1D300BD 06F761AF
	v_max_f32_e32 v189, v177, v189                             // 00000000ADCC: 177B7BB1
	s_waitcnt lgkmcnt(0)                                       // 00000000ADD0: BF8CC07F
	v_max3_f32 v190, v178, v179, v190                          // 00000000ADD4: D1D300BE 06FB67B2
	v_max_f32_e32 v190, v180, v190                             // 00000000ADDC: 177D7DB4
	ds_write_b128 v246, v[188:191] offset:4096                 // 00000000ADE0: D9BE1000 0000BCF6
	buffer_load_dword v154, v238, s[28:31], 0 offen            // 00000000ADE8: E0501000 80079AEE
	v_sub_f32_e32 v200, v194, v197                             // 00000000ADF0: 05918BC2
	v_cmp_eq_u32_e64 s[84:85], v225, v194                      // 00000000ADF4: D0CA0054 000385E1
	v_cndmask_b32_e64 v200, v200, 0, s[84:85]                  // 00000000ADFC: D10000C8 015101C8
	v_mov_b32_e32 v194, v197                                   // 00000000AE04: 7F8403C5
	v_mul_f32_e32 v200, s51, v200                              // 00000000AE08: 0B919033
	v_exp_f32_e32 v200, v200                                   // 00000000AE0C: 7F9041C8
	v_sub_f32_e32 v202, v195, v198                             // 00000000AE10: 05958DC3
	v_cmp_eq_u32_e64 s[84:85], v225, v195                      // 00000000AE14: D0CA0054 000387E1
	v_cndmask_b32_e64 v202, v202, 0, s[84:85]                  // 00000000AE1C: D10000CA 015101CA
	v_mov_b32_e32 v195, v198                                   // 00000000AE24: 7F8603C6
	v_mul_f32_e32 v202, s51, v202                              // 00000000AE28: 0B959433
	v_exp_f32_e32 v202, v202                                   // 00000000AE2C: 7F9441CA
	v_sub_f32_e32 v204, v196, v199                             // 00000000AE30: 05998FC4
	v_cmp_eq_u32_e64 s[84:85], v225, v196                      // 00000000AE34: D0CA0054 000389E1
	v_cndmask_b32_e64 v204, v204, 0, s[84:85]                  // 00000000AE3C: D10000CC 015101CC
	v_mov_b32_e32 v196, v199                                   // 00000000AE44: 7F8803C7
	v_mul_f32_e32 v204, s51, v204                              // 00000000AE48: 0B999833
	v_exp_f32_e32 v204, v204                                   // 00000000AE4C: 7F9841CC
	v_mov_b32_e32 v201, v200                                   // 00000000AE50: 7F9203C8
	v_mov_b32_e32 v203, v202                                   // 00000000AE54: 7F9603CA
	v_mov_b32_e32 v205, v204                                   // 00000000AE58: 7F9A03CC
	s_waitcnt lgkmcnt(0)                                       // 00000000AE5C: BF8CC07F
	s_barrier                                                  // 00000000AE60: BF8A0000
	buffer_load_dword v156, v239, s[32:35], 0 offen            // 00000000AE64: E0501000 80089CEF
	v_mul_f32_e32 v206, v200, v206                             // 00000000AE6C: 0B9D9DC8
	v_mov_b32_e32 v207, 0                                      // 00000000AE70: 7F9E0280
	v_pk_add_f32 v[206:207], v[4:5], v[206:207]                // 00000000AE74: D3B240CE 18039D04
	v_pk_add_f32 v[206:207], v[6:7], v[206:207]                // 00000000AE7C: D3B240CE 18039D06
	v_pk_add_f32 v[206:207], v[8:9], v[206:207]                // 00000000AE84: D3B240CE 18039D08
	v_pk_add_f32 v[206:207], v[10:11], v[206:207]              // 00000000AE8C: D3B240CE 18039D0A
	v_pk_add_f32 v[206:207], v[12:13], v[206:207]              // 00000000AE94: D3B240CE 18039D0C
	v_pk_add_f32 v[206:207], v[14:15], v[206:207]              // 00000000AE9C: D3B240CE 18039D0E
	v_pk_add_f32 v[206:207], v[16:17], v[206:207]              // 00000000AEA4: D3B240CE 18039D10
	v_pk_add_f32 v[206:207], v[18:19], v[206:207]              // 00000000AEAC: D3B240CE 18039D12
	v_add_f32_e32 v206, v207, v206                             // 00000000AEB4: 039D9DCF
	v_mul_f32_e32 v208, v202, v208                             // 00000000AEB8: 0BA1A1CA
	v_mov_b32_e32 v209, 0                                      // 00000000AEBC: 7FA20280
	v_pk_add_f32 v[208:209], v[20:21], v[208:209]              // 00000000AEC0: D3B240D0 1803A114
	v_pk_add_f32 v[208:209], v[22:23], v[208:209]              // 00000000AEC8: D3B240D0 1803A116
	v_pk_add_f32 v[208:209], v[24:25], v[208:209]              // 00000000AED0: D3B240D0 1803A118
	v_pk_add_f32 v[208:209], v[26:27], v[208:209]              // 00000000AED8: D3B240D0 1803A11A
	v_pk_add_f32 v[208:209], v[28:29], v[208:209]              // 00000000AEE0: D3B240D0 1803A11C
	v_pk_add_f32 v[208:209], v[30:31], v[208:209]              // 00000000AEE8: D3B240D0 1803A11E
	v_pk_add_f32 v[208:209], v[32:33], v[208:209]              // 00000000AEF0: D3B240D0 1803A120
	v_pk_add_f32 v[208:209], v[34:35], v[208:209]              // 00000000AEF8: D3B240D0 1803A122
	v_add_f32_e32 v208, v209, v208                             // 00000000AF00: 03A1A1D1
	v_mul_f32_e32 v210, v204, v210                             // 00000000AF04: 0BA5A5CC
	v_mov_b32_e32 v211, 0                                      // 00000000AF08: 7FA60280
	v_pk_add_f32 v[210:211], v[36:37], v[210:211]              // 00000000AF0C: D3B240D2 1803A524
	v_pk_add_f32 v[210:211], v[38:39], v[210:211]              // 00000000AF14: D3B240D2 1803A526
	v_pk_add_f32 v[210:211], v[40:41], v[210:211]              // 00000000AF1C: D3B240D2 1803A528
	v_pk_add_f32 v[210:211], v[42:43], v[210:211]              // 00000000AF24: D3B240D2 1803A52A
	v_add_f32_e32 v210, v211, v210                             // 00000000AF2C: 03A5A5D3
	ds_read_b128 v[172:175], v247 offset:4096                  // 00000000AF30: D9FE1000 AC0000F7
	ds_read_b128 v[176:179], v247 offset:4352                  // 00000000AF38: D9FE1100 B00000F7
	ds_read_b128 v[180:183], v247 offset:4608                  // 00000000AF40: D9FE1200 B40000F7
	ds_read_b128 v[184:187], v247 offset:4864                  // 00000000AF48: D9FE1300 B80000F7
	s_waitcnt lgkmcnt(0)                                       // 00000000AF50: BF8CC07F
	v_max3_f32 v188, v172, v176, v188                          // 00000000AF54: D1D300BC 06F361AC
	v_max3_f32 v189, v173, v177, v189                          // 00000000AF5C: D1D300BD 06F763AD
	v_max3_f32 v190, v174, v178, v190                          // 00000000AF64: D1D300BE 06FB65AE
	v_max3_f32 v188, v180, v184, v188                          // 00000000AF6C: D1D300BC 06F371B4
	v_max3_f32 v189, v181, v185, v189                          // 00000000AF74: D1D300BD 06F773B5
	v_max3_f32 v190, v182, v186, v190                          // 00000000AF7C: D1D300BE 06FB75B6
	v_rcp_f32_e32 v188, v188                                   // 00000000AF84: 7F7845BC
	v_rcp_f32_e32 v189, v189                                   // 00000000AF88: 7F7A45BD
	v_rcp_f32_e32 v190, v190                                   // 00000000AF8C: 7F7C45BE
	v_mul_f32_e32 v188, 0x43700000, v188                       // 00000000AF90: 0B7978FF 43700000
	v_mul_f32_e32 v189, 0x43700000, v189                       // 00000000AF98: 0B7B7AFF 43700000
	v_mul_f32_e32 v190, 0x43700000, v190                       // 00000000AFA0: 0B7D7CFF 43700000
	v_mov_b32_e32 v192, v190                                   // 00000000AFA8: 7F8003BE
	v_mov_b32_e32 v193, v190                                   // 00000000AFAC: 7F8203BE
	v_mov_b32_e32 v190, v189                                   // 00000000AFB0: 7F7C03BD
	v_mov_b32_e32 v191, v189                                   // 00000000AFB4: 7F7E03BD
	v_mov_b32_e32 v189, v188                                   // 00000000AFB8: 7F7A03BC
	v_pk_mul_f32 v[4:5], v[188:189], v[52:53]                  // 00000000AFBC: D3B14004 180269BC
	v_pk_mul_f32 v[6:7], v[188:189], v[54:55]                  // 00000000AFC4: D3B14006 18026DBC
	v_pk_mul_f32 v[8:9], v[188:189], v[56:57]                  // 00000000AFCC: D3B14008 180271BC
	v_pk_mul_f32 v[10:11], v[188:189], v[58:59]                // 00000000AFD4: D3B1400A 180275BC
	v_pk_mul_f32 v[12:13], v[188:189], v[60:61]                // 00000000AFDC: D3B1400C 180279BC
	v_pk_mul_f32 v[14:15], v[188:189], v[62:63]                // 00000000AFE4: D3B1400E 18027DBC
	v_pk_mul_f32 v[16:17], v[188:189], v[64:65]                // 00000000AFEC: D3B14010 180281BC
	v_pk_mul_f32 v[18:19], v[188:189], v[66:67]                // 00000000AFF4: D3B14012 180285BC
	v_pk_mul_f32 v[20:21], v[190:191], v[68:69]                // 00000000AFFC: D3B14014 180289BE
	v_pk_mul_f32 v[22:23], v[190:191], v[70:71]                // 00000000B004: D3B14016 18028DBE
	v_pk_mul_f32 v[24:25], v[190:191], v[72:73]                // 00000000B00C: D3B14018 180291BE
	v_pk_mul_f32 v[26:27], v[190:191], v[74:75]                // 00000000B014: D3B1401A 180295BE
	v_pk_mul_f32 v[28:29], v[190:191], v[76:77]                // 00000000B01C: D3B1401C 180299BE
	v_pk_mul_f32 v[30:31], v[190:191], v[78:79]                // 00000000B024: D3B1401E 18029DBE
	v_pk_mul_f32 v[32:33], v[190:191], v[80:81]                // 00000000B02C: D3B14020 1802A1BE
	v_pk_mul_f32 v[34:35], v[190:191], v[82:83]                // 00000000B034: D3B14022 1802A5BE
	v_pk_mul_f32 v[36:37], v[192:193], v[84:85]                // 00000000B03C: D3B14024 1802A9C0
	v_pk_mul_f32 v[38:39], v[192:193], v[86:87]                // 00000000B044: D3B14026 1802ADC0
	v_pk_mul_f32 v[40:41], v[192:193], v[88:89]                // 00000000B04C: D3B14028 1802B1C0
	v_pk_mul_f32 v[42:43], v[192:193], v[90:91]                // 00000000B054: D3B1402A 1802B5C0
	v_cvt_pk_fp8_f32 v4, v4, v5                                // 00000000B05C: D2A20004 00020B04
	v_cvt_pk_fp8_f32 v4, v6, v7 op_sel:[0,0,1]                 // 00000000B064: D2A24004 00020F06
	v_cvt_pk_fp8_f32 v5, v8, v9                                // 00000000B06C: D2A20005 00021308
	v_cvt_pk_fp8_f32 v5, v10, v11 op_sel:[0,0,1]               // 00000000B074: D2A24005 0002170A
	v_cvt_pk_fp8_f32 v6, v12, v13                              // 00000000B07C: D2A20006 00021B0C
	v_cvt_pk_fp8_f32 v6, v14, v15 op_sel:[0,0,1]               // 00000000B084: D2A24006 00021F0E
	v_cvt_pk_fp8_f32 v7, v16, v17                              // 00000000B08C: D2A20007 00022310
	v_cvt_pk_fp8_f32 v7, v18, v19 op_sel:[0,0,1]               // 00000000B094: D2A24007 00022712
	v_cvt_pk_fp8_f32 v8, v20, v21                              // 00000000B09C: D2A20008 00022B14
	v_cvt_pk_fp8_f32 v8, v22, v23 op_sel:[0,0,1]               // 00000000B0A4: D2A24008 00022F16
	v_cvt_pk_fp8_f32 v9, v24, v25                              // 00000000B0AC: D2A20009 00023318
	v_cvt_pk_fp8_f32 v9, v26, v27 op_sel:[0,0,1]               // 00000000B0B4: D2A24009 0002371A
	v_cvt_pk_fp8_f32 v10, v28, v29                             // 00000000B0BC: D2A2000A 00023B1C
	v_cvt_pk_fp8_f32 v10, v30, v31 op_sel:[0,0,1]              // 00000000B0C4: D2A2400A 00023F1E
	v_cvt_pk_fp8_f32 v11, v32, v33                             // 00000000B0CC: D2A2000B 00024320
	v_cvt_pk_fp8_f32 v11, v34, v35 op_sel:[0,0,1]              // 00000000B0D4: D2A2400B 00024722
	v_cvt_pk_fp8_f32 v12, v36, v37                             // 00000000B0DC: D2A2000C 00024B24
	v_cvt_pk_fp8_f32 v12, v38, v39 op_sel:[0,0,1]              // 00000000B0E4: D2A2400C 00024F26
	v_cvt_pk_fp8_f32 v13, v40, v41                             // 00000000B0EC: D2A2000D 00025328
	v_cvt_pk_fp8_f32 v13, v42, v43 op_sel:[0,0,1]              // 00000000B0F4: D2A2400D 0002572A
	v_mov_b32_dpp v14, v12 row_shl:8 row_mask:0xf bank_mask:0xf bound_ctrl:1// 00000000B0FC: 7E1C02FA FF09080C
	v_and_b32_e32 v12, v12, v224                               // 00000000B104: 2619C10C
	v_mov_b32_dpp v15, v13 row_shl:8 row_mask:0xf bank_mask:0xf bound_ctrl:1// 00000000B108: 7E1E02FA FF09080D
	v_and_b32_e32 v13, v13, v224                               // 00000000B110: 261BC10D
	ds_write_b32 v248, v4 offset:8192                          // 00000000B114: D81A2000 000004F8
	ds_write_b32 v248, v5 offset:9216                          // 00000000B11C: D81A2400 000005F8
	ds_write_b32 v248, v6 offset:10240                         // 00000000B124: D81A2800 000006F8
	ds_write_b32 v248, v7 offset:11264                         // 00000000B12C: D81A2C00 000007F8
	ds_write_b32 v248, v8 offset:12288                         // 00000000B134: D81A3000 000008F8
	ds_write_b32 v248, v9 offset:13312                         // 00000000B13C: D81A3400 000009F8
	ds_write_b32 v248, v10 offset:14336                        // 00000000B144: D81A3800 00000AF8
	ds_write_b32 v248, v11 offset:15360                        // 00000000B14C: D81A3C00 00000BF8
	ds_write_b32 v248, v12 offset:16384                        // 00000000B154: D81A4000 00000CF8
	ds_write_b32 v248, v13 offset:17408                        // 00000000B15C: D81A4400 00000DF8
	ds_write_b32 v248, v14 offset:18432                        // 00000000B164: D81A4800 00000EF8
	ds_write_b32 v248, v15 offset:19456                        // 00000000B16C: D81A4C00 00000FF8
	v_rcp_f32_e32 v158, v188                                   // 00000000B174: 7F3C45BC
	v_rcp_f32_e32 v160, v190                                   // 00000000B178: 7F4045BE
	v_rcp_f32_e32 v162, v192                                   // 00000000B17C: 7F4445C0
	v_mov_b32_e32 v159, v158                                   // 00000000B180: 7F3E039E
	v_mov_b32_e32 v161, v160                                   // 00000000B184: 7F4203A0
	v_mov_b32_e32 v163, v162                                   // 00000000B188: 7F4603A2
	v_pk_add_f32 v[124:125], v[124:125], v[100:101]            // 00000000B18C: D3B2407C 1802C97C
	v_pk_add_f32 v[126:127], v[126:127], v[102:103]            // 00000000B194: D3B2407E 1802CD7E
	v_pk_add_f32 v[128:129], v[128:129], v[104:105]            // 00000000B19C: D3B24080 1802D180
	v_pk_add_f32 v[130:131], v[130:131], v[106:107]            // 00000000B1A4: D3B24082 1802D582
	v_pk_add_f32 v[132:133], v[132:133], v[108:109]            // 00000000B1AC: D3B24084 1802D984
	v_pk_add_f32 v[134:135], v[134:135], v[110:111]            // 00000000B1B4: D3B24086 1802DD86
	v_pk_add_f32 v[136:137], v[136:137], v[112:113]            // 00000000B1BC: D3B24088 1802E188
	v_pk_add_f32 v[138:139], v[138:139], v[114:115]            // 00000000B1C4: D3B2408A 1802E58A
	v_pk_add_f32 v[140:141], v[140:141], v[116:117]            // 00000000B1CC: D3B2408C 1802E98C
	v_pk_add_f32 v[142:143], v[142:143], v[118:119]            // 00000000B1D4: D3B2408E 1802ED8E
	v_pk_add_f32 v[144:145], v[144:145], v[120:121]            // 00000000B1DC: D3B24090 1802F190
	v_pk_add_f32 v[146:147], v[146:147], v[122:123]            // 00000000B1E4: D3B24092 1802F592
	s_waitcnt lgkmcnt(0)                                       // 00000000B1EC: BF8CC07F
	s_barrier                                                  // 00000000B1F0: BF8A0000
	ds_read_b128 v[4:7], v249 offset:8192                      // 00000000B1F4: D9FE2000 040000F9
	ds_read_b128 v[8:11], v249 offset:9216                     // 00000000B1FC: D9FE2400 080000F9
	ds_read_b128 v[12:15], v249 offset:10240                   // 00000000B204: D9FE2800 0C0000F9
	ds_read_b128 v[16:19], v249 offset:11264                   // 00000000B20C: D9FE2C00 100000F9
	ds_read_b128 v[20:23], v249 offset:12288                   // 00000000B214: D9FE3000 140000F9
	ds_read_b128 v[24:27], v249 offset:13312                   // 00000000B21C: D9FE3400 180000F9
	ds_read_b128 v[28:31], v249 offset:14336                   // 00000000B224: D9FE3800 1C0000F9
	ds_read_b128 v[32:35], v249 offset:15360                   // 00000000B22C: D9FE3C00 200000F9
	ds_read_b128 v[36:39], v249 offset:16384                   // 00000000B234: D9FE4000 240000F9
	ds_read_b128 v[40:43], v249 offset:17408                   // 00000000B23C: D9FE4400 280000F9
	ds_read_b128 v[44:47], v249 offset:18432                   // 00000000B244: D9FE4800 2C0000F9
	ds_read_b128 v[48:51], v249 offset:19456                   // 00000000B24C: D9FE4C00 300000F9
	s_waitcnt vmcnt(10)                                        // 00000000B254: BF8C0F7A
	s_waitcnt lgkmcnt(11)                                      // 00000000B258: BF8CCB7F
	v_mfma_f32_16x16x32_fp8_fp8 v[100:103], a[120:121], v[4:5], 0// 00000000B25C: D3F30064 0A020978
	v_mfma_f32_16x16x32_fp8_fp8 v[104:107], a[136:137], v[4:5], 0// 00000000B264: D3F30068 0A020988
	v_mfma_f32_16x16x32_fp8_fp8 v[100:103], a[122:123], v[6:7], v[100:103]// 00000000B26C: D3F30064 0D920D7A
	buffer_load_dwordx4 a[88:91], v234, s[16:19], 0 offen      // 00000000B274: E05C1000 808458EA
	v_mfma_f32_16x16x32_fp8_fp8 v[104:107], a[138:139], v[6:7], v[104:107]// 00000000B27C: D3F30068 0DA20D8A
	s_waitcnt lgkmcnt(10)                                      // 00000000B284: BF8CCA7F
	v_mfma_f32_16x16x32_fp8_fp8 v[100:103], a[124:125], v[8:9], v[100:103]// 00000000B288: D3F30064 0D92117C
	v_mfma_f32_16x16x32_fp8_fp8 v[104:107], a[140:141], v[8:9], v[104:107]// 00000000B290: D3F30068 0DA2118C
	v_mfma_f32_16x16x32_fp8_fp8 v[100:103], a[126:127], v[10:11], v[100:103]// 00000000B298: D3F30064 0D92157E
	buffer_load_dwordx4 a[92:95], v235, s[16:19], 0 offen      // 00000000B2A0: E05C1000 80845CEB
	v_mfma_f32_16x16x32_fp8_fp8 v[104:107], a[142:143], v[10:11], v[104:107]// 00000000B2A8: D3F30068 0DA2158E
	s_waitcnt lgkmcnt(9)                                       // 00000000B2B0: BF8CC97F
	v_mfma_f32_16x16x32_fp8_fp8 v[100:103], a[128:129], v[12:13], v[100:103]// 00000000B2B4: D3F30064 0D921980
	v_mfma_f32_16x16x32_fp8_fp8 v[104:107], a[144:145], v[12:13], v[104:107]// 00000000B2BC: D3F30068 0DA21990
	v_mfma_f32_16x16x32_fp8_fp8 v[100:103], a[130:131], v[14:15], v[100:103]// 00000000B2C4: D3F30064 0D921D82
	buffer_load_dwordx4 a[96:99], v236, s[16:19], 0 offen      // 00000000B2CC: E05C1000 808460EC
	v_mfma_f32_16x16x32_fp8_fp8 v[104:107], a[146:147], v[14:15], v[104:107]// 00000000B2D4: D3F30068 0DA21D92
	s_waitcnt lgkmcnt(8)                                       // 00000000B2DC: BF8CC87F
	v_mfma_f32_16x16x32_fp8_fp8 v[100:103], a[132:133], v[16:17], v[100:103]// 00000000B2E0: D3F30064 0D922184
	v_mfma_f32_16x16x32_fp8_fp8 v[104:107], a[148:149], v[16:17], v[104:107]// 00000000B2E8: D3F30068 0DA22194
	v_mfma_f32_16x16x32_fp8_fp8 v[100:103], a[134:135], v[18:19], v[100:103]// 00000000B2F0: D3F30064 0D922586
	buffer_load_dwordx4 a[100:103], v237, s[16:19], 0 offen    // 00000000B2F8: E05C1000 808464ED
	v_mfma_f32_16x16x32_fp8_fp8 v[104:107], a[150:151], v[18:19], v[104:107]// 00000000B300: D3F30068 0DA22596
	s_waitcnt lgkmcnt(7)                                       // 00000000B308: BF8CC77F
	v_mfma_f32_16x16x32_fp8_fp8 v[108:111], a[120:121], v[20:21], 0// 00000000B30C: D3F3006C 0A022978
	v_mfma_f32_16x16x32_fp8_fp8 v[112:115], a[136:137], v[20:21], 0// 00000000B314: D3F30070 0A022988
	v_mfma_f32_16x16x32_fp8_fp8 v[108:111], a[122:123], v[22:23], v[108:111]// 00000000B31C: D3F3006C 0DB22D7A
	buffer_load_dwordx4 a[104:107], v234, s[16:19], 0 offen offset:1024// 00000000B324: E05C1400 808468EA
	v_mfma_f32_16x16x32_fp8_fp8 v[112:115], a[138:139], v[22:23], v[112:115]// 00000000B32C: D3F30070 0DC22D8A
	s_waitcnt lgkmcnt(6)                                       // 00000000B334: BF8CC67F
	v_mfma_f32_16x16x32_fp8_fp8 v[108:111], a[124:125], v[24:25], v[108:111]// 00000000B338: D3F3006C 0DB2317C
	v_mfma_f32_16x16x32_fp8_fp8 v[112:115], a[140:141], v[24:25], v[112:115]// 00000000B340: D3F30070 0DC2318C
	v_mfma_f32_16x16x32_fp8_fp8 v[108:111], a[126:127], v[26:27], v[108:111]// 00000000B348: D3F3006C 0DB2357E
	buffer_load_dwordx4 a[108:111], v235, s[16:19], 0 offen offset:1024// 00000000B350: E05C1400 80846CEB
	v_mfma_f32_16x16x32_fp8_fp8 v[112:115], a[142:143], v[26:27], v[112:115]// 00000000B358: D3F30070 0DC2358E
	s_waitcnt lgkmcnt(5)                                       // 00000000B360: BF8CC57F
	v_mfma_f32_16x16x32_fp8_fp8 v[108:111], a[128:129], v[28:29], v[108:111]// 00000000B364: D3F3006C 0DB23980
	v_mfma_f32_16x16x32_fp8_fp8 v[112:115], a[144:145], v[28:29], v[112:115]// 00000000B36C: D3F30070 0DC23990
	v_mfma_f32_16x16x32_fp8_fp8 v[108:111], a[130:131], v[30:31], v[108:111]// 00000000B374: D3F3006C 0DB23D82
	buffer_load_dwordx4 a[112:115], v236, s[16:19], 0 offen offset:1024// 00000000B37C: E05C1400 808470EC
	v_mfma_f32_16x16x32_fp8_fp8 v[112:115], a[146:147], v[30:31], v[112:115]// 00000000B384: D3F30070 0DC23D92
	s_waitcnt lgkmcnt(4)                                       // 00000000B38C: BF8CC47F
	v_mfma_f32_16x16x32_fp8_fp8 v[108:111], a[132:133], v[32:33], v[108:111]// 00000000B390: D3F3006C 0DB24184
	v_mfma_f32_16x16x32_fp8_fp8 v[112:115], a[148:149], v[32:33], v[112:115]// 00000000B398: D3F30070 0DC24194
	v_mfma_f32_16x16x32_fp8_fp8 v[108:111], a[134:135], v[34:35], v[108:111]// 00000000B3A0: D3F3006C 0DB24586
	buffer_load_dwordx4 a[116:119], v237, s[16:19], 0 offen offset:1024// 00000000B3A8: E05C1400 808474ED
	v_mfma_f32_16x16x32_fp8_fp8 v[112:115], a[150:151], v[34:35], v[112:115]// 00000000B3B0: D3F30070 0DC24596
	s_waitcnt lgkmcnt(3)                                       // 00000000B3B8: BF8CC37F
	v_mfma_f32_16x16x32_fp8_fp8 v[116:119], a[120:121], v[36:37], 0// 00000000B3BC: D3F30074 0A024978
	v_mfma_f32_16x16x32_fp8_fp8 v[120:123], a[136:137], v[36:37], 0// 00000000B3C4: D3F30078 0A024988
	v_mfma_f32_16x16x32_fp8_fp8 v[116:119], a[122:123], v[38:39], v[116:119]// 00000000B3CC: D3F30074 0DD24D7A
	v_mfma_f32_16x16x32_fp8_fp8 v[120:123], a[138:139], v[38:39], v[120:123]// 00000000B3D4: D3F30078 0DE24D8A
	s_waitcnt lgkmcnt(2)                                       // 00000000B3DC: BF8CC27F
	v_mfma_f32_16x16x32_fp8_fp8 v[116:119], a[124:125], v[40:41], v[116:119]// 00000000B3E0: D3F30074 0DD2517C
	v_mfma_f32_16x16x32_fp8_fp8 v[120:123], a[140:141], v[40:41], v[120:123]// 00000000B3E8: D3F30078 0DE2518C
	v_mfma_f32_16x16x32_fp8_fp8 v[116:119], a[126:127], v[42:43], v[116:119]// 00000000B3F0: D3F30074 0DD2557E
	v_mfma_f32_16x16x32_fp8_fp8 v[120:123], a[142:143], v[42:43], v[120:123]// 00000000B3F8: D3F30078 0DE2558E
	s_waitcnt lgkmcnt(1)                                       // 00000000B400: BF8CC17F
	v_mfma_f32_16x16x32_fp8_fp8 v[116:119], a[128:129], v[44:45], v[116:119]// 00000000B404: D3F30074 0DD25980
	v_mfma_f32_16x16x32_fp8_fp8 v[120:123], a[144:145], v[44:45], v[120:123]// 00000000B40C: D3F30078 0DE25990
	v_mfma_f32_16x16x32_fp8_fp8 v[116:119], a[130:131], v[46:47], v[116:119]// 00000000B414: D3F30074 0DD25D82
	v_mfma_f32_16x16x32_fp8_fp8 v[120:123], a[146:147], v[46:47], v[120:123]// 00000000B41C: D3F30078 0DE25D92
	s_waitcnt lgkmcnt(0)                                       // 00000000B424: BF8CC07F
	v_mfma_f32_16x16x32_fp8_fp8 v[116:119], a[132:133], v[48:49], v[116:119]// 00000000B428: D3F30074 0DD26184
	v_mfma_f32_16x16x32_fp8_fp8 v[120:123], a[148:149], v[48:49], v[120:123]// 00000000B430: D3F30078 0DE26194
	v_mfma_f32_16x16x32_fp8_fp8 v[116:119], a[134:135], v[50:51], v[116:119]// 00000000B438: D3F30074 0DD26586
	v_mfma_f32_16x16x32_fp8_fp8 v[120:123], a[150:151], v[50:51], v[120:123]// 00000000B440: D3F30078 0DE26596
	s_addk_i32 s49, 0x100                                      // 00000000B448: B7310100
	s_branch label_13C3                                        // 00000000B44C: BF82EEEF

000000000000b450 <label_24D4>:
	s_cmp_lt_i32 s49, s60                                      // 00000000B450: BF043C31
	s_cbranch_scc0 label_3A14                                  // 00000000B454: BF84153E
	s_waitcnt vmcnt(10)                                        // 00000000B458: BF8C0F7A
	v_mfma_f32_16x16x32_fp8_fp8 v[4:7], a[24:25], a[0:1], 0    // 00000000B45C: D3F30004 1A020118
	s_add_u32 s12, s76, s64                                    // 00000000B464: 800C404C
	s_addc_u32 s13, s77, 0                                     // 00000000B468: 820D804D
	v_mfma_f32_16x16x32_fp8_fp8 v[4:7], a[26:27], a[2:3], v[4:7]// 00000000B46C: D3F30004 1C12051A
	s_add_u32 s16, s78, s65                                    // 00000000B474: 8010414E
	s_addc_u32 s17, s79, 0                                     // 00000000B478: 8211804F
	v_mfma_f32_16x16x32_fp8_fp8 v[4:7], a[28:29], a[4:5], v[4:7]// 00000000B47C: D3F30004 1C12091C
	buffer_load_dwordx4 a[56:59], v232, s[12:15], 0 offen      // 00000000B484: E05C1000 808338E8
	v_mfma_f32_16x16x32_fp8_fp8 v[4:7], a[30:31], a[6:7], v[4:7]// 00000000B48C: D3F30004 1C120D1E
	s_add_u32 s28, s80, s66                                    // 00000000B494: 801C4250
	s_addc_u32 s29, s81, 0                                     // 00000000B498: 821D8051
	v_mfma_f32_16x16x32_fp8_fp8 v[8:11], a[32:33], a[0:1], 0   // 00000000B49C: D3F30008 1A020120
	s_add_u32 s32, s82, s66                                    // 00000000B4A4: 80204252
	s_addc_u32 s33, s83, 0                                     // 00000000B4A8: 82218053
	v_mfma_f32_16x16x32_fp8_fp8 v[8:11], a[34:35], a[2:3], v[8:11]// 00000000B4AC: D3F30008 1C220522
	s_add_u32 s64, s64, 0x1000                                 // 00000000B4B4: 8040FF40 00001000
	s_add_u32 s65, s65, 0x8000                                 // 00000000B4BC: 8041FF41 00008000
	v_mfma_f32_16x16x32_fp8_fp8 v[8:11], a[36:37], a[4:5], v[8:11]// 00000000B4C4: D3F30008 1C220924
	buffer_load_dwordx4 a[60:63], v233, s[12:15], 0 offen      // 00000000B4CC: E05C1000 80833CE9
	v_mfma_f32_16x16x32_fp8_fp8 v[8:11], a[38:39], a[6:7], v[8:11]// 00000000B4D4: D3F30008 1C220D26
	s_add_u32 s66, s66, 0x400                                  // 00000000B4DC: 8042FF42 00000400
	v_mfma_f32_16x16x32_fp8_fp8 v[12:15], a[40:41], a[0:1], 0  // 00000000B4E4: D3F3000C 1A020128
	v_mfma_f32_16x16x32_fp8_fp8 v[12:15], a[42:43], a[2:3], v[12:15]// 00000000B4EC: D3F3000C 1C32052A
	v_mfma_f32_16x16x32_fp8_fp8 v[12:15], a[44:45], a[4:5], v[12:15]// 00000000B4F4: D3F3000C 1C32092C
	buffer_load_dwordx4 a[64:67], v232, s[12:15], 0 offen offset:1024// 00000000B4FC: E05C1400 808340E8
	v_mfma_f32_16x16x32_fp8_fp8 v[12:15], a[46:47], a[6:7], v[12:15]// 00000000B504: D3F3000C 1C320D2E
	v_mfma_f32_16x16x32_fp8_fp8 v[16:19], a[48:49], a[0:1], 0  // 00000000B50C: D3F30010 1A020130
	v_mfma_f32_16x16x32_fp8_fp8 v[16:19], a[50:51], a[2:3], v[16:19]// 00000000B514: D3F30010 1C420532
	v_mfma_f32_16x16x32_fp8_fp8 v[16:19], a[52:53], a[4:5], v[16:19]// 00000000B51C: D3F30010 1C420934
	buffer_load_dwordx4 a[68:71], v233, s[12:15], 0 offen offset:1024// 00000000B524: E05C1400 808344E9
	v_mfma_f32_16x16x32_fp8_fp8 v[16:19], a[54:55], a[6:7], v[16:19]// 00000000B52C: D3F30010 1C420D36
	v_mfma_f32_16x16x32_fp8_fp8 v[20:23], a[24:25], a[8:9], 0  // 00000000B534: D3F30014 1A021118
	v_mfma_f32_16x16x32_fp8_fp8 v[20:23], a[26:27], a[10:11], v[20:23]// 00000000B53C: D3F30014 1C52151A
	v_mfma_f32_16x16x32_fp8_fp8 v[20:23], a[28:29], a[12:13], v[20:23]// 00000000B544: D3F30014 1C52191C
	buffer_load_dwordx4 a[72:75], v232, s[12:15], 0 offen offset:2048// 00000000B54C: E05C1800 808348E8
	v_mfma_f32_16x16x32_fp8_fp8 v[20:23], a[30:31], a[14:15], v[20:23]// 00000000B554: D3F30014 1C521D1E
	v_mfma_f32_16x16x32_fp8_fp8 v[24:27], a[32:33], a[8:9], 0  // 00000000B55C: D3F30018 1A021120
	v_mfma_f32_16x16x32_fp8_fp8 v[24:27], a[34:35], a[10:11], v[24:27]// 00000000B564: D3F30018 1C621522
	v_mfma_f32_16x16x32_fp8_fp8 v[24:27], a[36:37], a[12:13], v[24:27]// 00000000B56C: D3F30018 1C621924
	buffer_load_dwordx4 a[76:79], v233, s[12:15], 0 offen offset:2048// 00000000B574: E05C1800 80834CE9
	v_mfma_f32_16x16x32_fp8_fp8 v[24:27], a[38:39], a[14:15], v[24:27]// 00000000B57C: D3F30018 1C621D26
	v_mfma_f32_16x16x32_fp8_fp8 v[28:31], a[40:41], a[8:9], 0  // 00000000B584: D3F3001C 1A021128
	v_mfma_f32_16x16x32_fp8_fp8 v[28:31], a[42:43], a[10:11], v[28:31]// 00000000B58C: D3F3001C 1C72152A
	v_mfma_f32_16x16x32_fp8_fp8 v[28:31], a[44:45], a[12:13], v[28:31]// 00000000B594: D3F3001C 1C72192C
	buffer_load_dwordx4 a[80:83], v232, s[12:15], 0 offen offset:3072// 00000000B59C: E05C1C00 808350E8
	v_mfma_f32_16x16x32_fp8_fp8 v[28:31], a[46:47], a[14:15], v[28:31]// 00000000B5A4: D3F3001C 1C721D2E
	v_mfma_f32_16x16x32_fp8_fp8 v[32:35], a[48:49], a[8:9], 0  // 00000000B5AC: D3F30020 1A021130
	v_mfma_f32_16x16x32_fp8_fp8 v[32:35], a[50:51], a[10:11], v[32:35]// 00000000B5B4: D3F30020 1C821532
	v_mfma_f32_16x16x32_fp8_fp8 v[32:35], a[52:53], a[12:13], v[32:35]// 00000000B5BC: D3F30020 1C821934
	buffer_load_dwordx4 a[84:87], v233, s[12:15], 0 offen offset:3072// 00000000B5C4: E05C1C00 808354E9
	v_mfma_f32_16x16x32_fp8_fp8 v[32:35], a[54:55], a[14:15], v[32:35]// 00000000B5CC: D3F30020 1C821D36
	v_mfma_f32_16x16x32_fp8_fp8 v[36:39], a[24:25], a[16:17], 0// 00000000B5D4: D3F30024 1A022118
	v_mfma_f32_16x16x32_fp8_fp8 v[36:39], a[26:27], a[18:19], v[36:39]// 00000000B5DC: D3F30024 1C92251A
	v_mfma_f32_16x16x32_fp8_fp8 v[36:39], a[28:29], a[20:21], v[36:39]// 00000000B5E4: D3F30024 1C92291C
	v_mfma_f32_16x16x32_fp8_fp8 v[36:39], a[30:31], a[22:23], v[36:39]// 00000000B5EC: D3F30024 1C922D1E
	v_mfma_f32_16x16x32_fp8_fp8 v[40:43], a[32:33], a[16:17], 0// 00000000B5F4: D3F30028 1A022120
	v_mfma_f32_16x16x32_fp8_fp8 v[40:43], a[34:35], a[18:19], v[40:43]// 00000000B5FC: D3F30028 1CA22522
	v_mfma_f32_16x16x32_fp8_fp8 v[40:43], a[36:37], a[20:21], v[40:43]// 00000000B604: D3F30028 1CA22924
	v_mfma_f32_16x16x32_fp8_fp8 v[40:43], a[38:39], a[22:23], v[40:43]// 00000000B60C: D3F30028 1CA22D26
	v_mfma_f32_16x16x32_fp8_fp8 v[44:47], a[40:41], a[16:17], 0// 00000000B614: D3F3002C 1A022128
	v_mfma_f32_16x16x32_fp8_fp8 v[44:47], a[42:43], a[18:19], v[44:47]// 00000000B61C: D3F3002C 1CB2252A
	v_mfma_f32_16x16x32_fp8_fp8 v[44:47], a[44:45], a[20:21], v[44:47]// 00000000B624: D3F3002C 1CB2292C
	v_mfma_f32_16x16x32_fp8_fp8 v[44:47], a[46:47], a[22:23], v[44:47]// 00000000B62C: D3F3002C 1CB22D2E
	v_mfma_f32_16x16x32_fp8_fp8 v[48:51], a[48:49], a[16:17], 0// 00000000B634: D3F30030 1A022130
	v_mfma_f32_16x16x32_fp8_fp8 v[48:51], a[50:51], a[18:19], v[48:51]// 00000000B63C: D3F30030 1CC22532
	v_mfma_f32_16x16x32_fp8_fp8 v[48:51], a[52:53], a[20:21], v[48:51]// 00000000B644: D3F30030 1CC22934
	v_mfma_f32_16x16x32_fp8_fp8 v[48:51], a[54:55], a[22:23], v[48:51]// 00000000B64C: D3F30030 1CC22D36
	s_waitcnt vmcnt(16)                                        // 00000000B654: BF8C4F70
	v_or_b32_dpp v36, v44, v36 row_shr:8 row_mask:0xf bank_mask:0xf bound_ctrl:1// 00000000B658: 284848FA FF09182C
	v_or_b32_dpp v37, v45, v37 row_shr:8 row_mask:0xf bank_mask:0xf bound_ctrl:1// 00000000B660: 284A4AFA FF09182D
	v_or_b32_dpp v38, v46, v38 row_shr:8 row_mask:0xf bank_mask:0xf bound_ctrl:1// 00000000B668: 284C4CFA FF09182E
	v_or_b32_dpp v39, v47, v39 row_shr:8 row_mask:0xf bank_mask:0xf bound_ctrl:1// 00000000B670: 284E4EFA FF09182F
	v_or_b32_dpp v40, v48, v40 row_shr:8 row_mask:0xf bank_mask:0xf bound_ctrl:1// 00000000B678: 285050FA FF091830
	v_or_b32_dpp v41, v49, v41 row_shr:8 row_mask:0xf bank_mask:0xf bound_ctrl:1// 00000000B680: 285252FA FF091831
	v_or_b32_dpp v42, v50, v42 row_shr:8 row_mask:0xf bank_mask:0xf bound_ctrl:1// 00000000B688: 285454FA FF091832
	v_or_b32_dpp v43, v51, v43 row_shr:8 row_mask:0xf bank_mask:0xf bound_ctrl:1// 00000000B690: 285656FA FF091833
	v_mov_b32_dpp v168, v154 row_shr:4 row_mask:0xf bank_mask:0xf// 00000000B698: 7F5002FA FF01149A
	v_mov_b32_dpp v169, v154 row_shl:4 row_mask:0xf bank_mask:0xf// 00000000B6A0: 7F5202FA FF01049A
	v_cndmask_b32_e64 v164, v154, v168, s[90:91]               // 00000000B6A8: D10000A4 016B519A
	v_cndmask_b32_e64 v165, v169, v154, s[90:91]               // 00000000B6B0: D10000A5 016B35A9
	v_mov_b32_dpp v168, v156 row_shr:4 row_mask:0xf bank_mask:0xf// 00000000B6B8: 7F5002FA FF01149C
	v_mov_b32_dpp v169, v156 row_shl:4 row_mask:0xf bank_mask:0xf// 00000000B6C0: 7F5202FA FF01049C
	v_cndmask_b32_e64 v166, v156, v168, s[90:91]               // 00000000B6C8: D10000A6 016B519C
	v_cndmask_b32_e64 v167, v169, v156, s[90:91]               // 00000000B6D0: D10000A7 016B39A9
	v_pk_mul_f32 v[4:5], v[148:149], v[4:5]                    // 00000000B6D8: D3B14004 18020994
	v_pk_mul_f32 v[6:7], v[148:149], v[6:7]                    // 00000000B6E0: D3B14006 18020D94
	v_pk_mul_f32 v[8:9], v[148:149], v[8:9]                    // 00000000B6E8: D3B14008 18021194
	v_pk_mul_f32 v[10:11], v[148:149], v[10:11]                // 00000000B6F0: D3B1400A 18021594
	v_pk_mul_f32 v[12:13], v[148:149], v[12:13]                // 00000000B6F8: D3B1400C 18021994
	v_pk_mul_f32 v[14:15], v[148:149], v[14:15]                // 00000000B700: D3B1400E 18021D94
	v_pk_mul_f32 v[16:17], v[148:149], v[16:17]                // 00000000B708: D3B14010 18022194
	v_pk_mul_f32 v[18:19], v[148:149], v[18:19]                // 00000000B710: D3B14012 18022594
	v_mul_f32_dpp v4, v154, v4 row_newbcast:0 row_mask:0xf bank_mask:0xf// 00000000B718: 0A0808FA FF01509A
	v_mul_f32_dpp v5, v154, v5 row_newbcast:1 row_mask:0xf bank_mask:0xf// 00000000B720: 0A0A0AFA FF01519A
	v_mul_f32_dpp v6, v154, v6 row_newbcast:2 row_mask:0xf bank_mask:0xf// 00000000B728: 0A0C0CFA FF01529A
	v_mul_f32_dpp v7, v154, v7 row_newbcast:3 row_mask:0xf bank_mask:0xf// 00000000B730: 0A0E0EFA FF01539A
	v_mul_f32_dpp v8, v154, v8 row_newbcast:4 row_mask:0xf bank_mask:0xf// 00000000B738: 0A1010FA FF01549A
	v_mul_f32_dpp v9, v154, v9 row_newbcast:5 row_mask:0xf bank_mask:0xf// 00000000B740: 0A1212FA FF01559A
	v_mul_f32_dpp v10, v154, v10 row_newbcast:6 row_mask:0xf bank_mask:0xf// 00000000B748: 0A1414FA FF01569A
	v_mul_f32_dpp v11, v154, v11 row_newbcast:7 row_mask:0xf bank_mask:0xf// 00000000B750: 0A1616FA FF01579A
	v_mul_f32_dpp v12, v154, v12 row_newbcast:8 row_mask:0xf bank_mask:0xf// 00000000B758: 0A1818FA FF01589A
	v_mul_f32_dpp v13, v154, v13 row_newbcast:9 row_mask:0xf bank_mask:0xf// 00000000B760: 0A1A1AFA FF01599A
	v_mul_f32_dpp v14, v154, v14 row_newbcast:10 row_mask:0xf bank_mask:0xf// 00000000B768: 0A1C1CFA FF015A9A
	v_mul_f32_dpp v15, v154, v15 row_newbcast:11 row_mask:0xf bank_mask:0xf// 00000000B770: 0A1E1EFA FF015B9A
	v_mul_f32_dpp v16, v154, v16 row_newbcast:12 row_mask:0xf bank_mask:0xf// 00000000B778: 0A2020FA FF015C9A
	v_mul_f32_dpp v17, v154, v17 row_newbcast:13 row_mask:0xf bank_mask:0xf// 00000000B780: 0A2222FA FF015D9A
	v_mul_f32_dpp v18, v154, v18 row_newbcast:14 row_mask:0xf bank_mask:0xf// 00000000B788: 0A2424FA FF015E9A
	v_mul_f32_dpp v19, v154, v19 row_newbcast:15 row_mask:0xf bank_mask:0xf// 00000000B790: 0A2626FA FF015F9A
	v_pk_mul_f32 v[20:21], v[150:151], v[20:21]                // 00000000B798: D3B14014 18022996
	v_pk_mul_f32 v[22:23], v[150:151], v[22:23]                // 00000000B7A0: D3B14016 18022D96
	v_pk_mul_f32 v[24:25], v[150:151], v[24:25]                // 00000000B7A8: D3B14018 18023196
	v_pk_mul_f32 v[26:27], v[150:151], v[26:27]                // 00000000B7B0: D3B1401A 18023596
	v_pk_mul_f32 v[28:29], v[150:151], v[28:29]                // 00000000B7B8: D3B1401C 18023996
	v_pk_mul_f32 v[30:31], v[150:151], v[30:31]                // 00000000B7C0: D3B1401E 18023D96
	v_pk_mul_f32 v[32:33], v[150:151], v[32:33]                // 00000000B7C8: D3B14020 18024196
	v_pk_mul_f32 v[34:35], v[150:151], v[34:35]                // 00000000B7D0: D3B14022 18024596
	v_mul_f32_dpp v20, v154, v20 row_newbcast:0 row_mask:0xf bank_mask:0xf// 00000000B7D8: 0A2828FA FF01509A
	v_mul_f32_dpp v21, v154, v21 row_newbcast:1 row_mask:0xf bank_mask:0xf// 00000000B7E0: 0A2A2AFA FF01519A
	v_mul_f32_dpp v22, v154, v22 row_newbcast:2 row_mask:0xf bank_mask:0xf// 00000000B7E8: 0A2C2CFA FF01529A
	v_mul_f32_dpp v23, v154, v23 row_newbcast:3 row_mask:0xf bank_mask:0xf// 00000000B7F0: 0A2E2EFA FF01539A
	v_mul_f32_dpp v24, v154, v24 row_newbcast:4 row_mask:0xf bank_mask:0xf// 00000000B7F8: 0A3030FA FF01549A
	v_mul_f32_dpp v25, v154, v25 row_newbcast:5 row_mask:0xf bank_mask:0xf// 00000000B800: 0A3232FA FF01559A
	v_mul_f32_dpp v26, v154, v26 row_newbcast:6 row_mask:0xf bank_mask:0xf// 00000000B808: 0A3434FA FF01569A
	v_mul_f32_dpp v27, v154, v27 row_newbcast:7 row_mask:0xf bank_mask:0xf// 00000000B810: 0A3636FA FF01579A
	v_mul_f32_dpp v28, v154, v28 row_newbcast:8 row_mask:0xf bank_mask:0xf// 00000000B818: 0A3838FA FF01589A
	v_mul_f32_dpp v29, v154, v29 row_newbcast:9 row_mask:0xf bank_mask:0xf// 00000000B820: 0A3A3AFA FF01599A
	v_mul_f32_dpp v30, v154, v30 row_newbcast:10 row_mask:0xf bank_mask:0xf// 00000000B828: 0A3C3CFA FF015A9A
	v_mul_f32_dpp v31, v154, v31 row_newbcast:11 row_mask:0xf bank_mask:0xf// 00000000B830: 0A3E3EFA FF015B9A
	v_mul_f32_dpp v32, v154, v32 row_newbcast:12 row_mask:0xf bank_mask:0xf// 00000000B838: 0A4040FA FF015C9A
	v_mul_f32_dpp v33, v154, v33 row_newbcast:13 row_mask:0xf bank_mask:0xf// 00000000B840: 0A4242FA FF015D9A
	v_mul_f32_dpp v34, v154, v34 row_newbcast:14 row_mask:0xf bank_mask:0xf// 00000000B848: 0A4444FA FF015E9A
	v_mul_f32_dpp v35, v154, v35 row_newbcast:15 row_mask:0xf bank_mask:0xf// 00000000B850: 0A4646FA FF015F9A
	v_pk_mul_f32 v[36:37], v[152:153], v[36:37]                // 00000000B858: D3B14024 18024998
	v_pk_mul_f32 v[38:39], v[152:153], v[38:39]                // 00000000B860: D3B14026 18024D98
	v_pk_mul_f32 v[40:41], v[152:153], v[40:41]                // 00000000B868: D3B14028 18025198
	v_pk_mul_f32 v[42:43], v[152:153], v[42:43]                // 00000000B870: D3B1402A 18025598
	v_mul_f32_dpp v36, v164, v36 quad_perm:[0,0,0,0] row_mask:0xf bank_mask:0xf// 00000000B878: 0A4848FA FF0000A4
	v_mul_f32_dpp v37, v164, v37 quad_perm:[1,1,1,1] row_mask:0xf bank_mask:0xf// 00000000B880: 0A4A4AFA FF0055A4
	v_mul_f32_dpp v38, v164, v38 quad_perm:[2,2,2,2] row_mask:0xf bank_mask:0xf// 00000000B888: 0A4C4CFA FF00AAA4
	v_mul_f32_dpp v39, v164, v39 quad_perm:[3,3,3,3] row_mask:0xf bank_mask:0xf// 00000000B890: 0A4E4EFA FF00FFA4
	v_mul_f32_dpp v40, v165, v40 quad_perm:[0,0,0,0] row_mask:0xf bank_mask:0xf// 00000000B898: 0A5050FA FF0000A5
	v_mul_f32_dpp v41, v165, v41 quad_perm:[1,1,1,1] row_mask:0xf bank_mask:0xf// 00000000B8A0: 0A5252FA FF0055A5
	v_mul_f32_dpp v42, v165, v42 quad_perm:[2,2,2,2] row_mask:0xf bank_mask:0xf// 00000000B8A8: 0A5454FA FF00AAA5
	v_mul_f32_dpp v43, v165, v43 quad_perm:[3,3,3,3] row_mask:0xf bank_mask:0xf// 00000000B8B0: 0A5656FA FF00FFA5
	v_add_u32_e32 v168, s49, v222                              // 00000000B8B8: 6951BC31
	v_add_u32_e32 v169, 0, v168                                // 00000000B8BC: 69535080
	v_cmp_lt_u32_e64 s[84:85], v169, v219                      // 00000000B8C0: D0C90054 0003B7A9
	s_nop 0                                                    // 00000000B8C8: BF800000
	v_cndmask_b32_e64 v4, v225, v4, s[84:85]                   // 00000000B8CC: D1000004 015209E1
	v_add_u32_e32 v169, 1, v168                                // 00000000B8D4: 69535081
	v_cmp_lt_u32_e64 s[84:85], v169, v219                      // 00000000B8D8: D0C90054 0003B7A9
	s_nop 0                                                    // 00000000B8E0: BF800000
	v_cndmask_b32_e64 v5, v225, v5, s[84:85]                   // 00000000B8E4: D1000005 01520BE1
	v_add_u32_e32 v169, 2, v168                                // 00000000B8EC: 69535082
	v_cmp_lt_u32_e64 s[84:85], v169, v219                      // 00000000B8F0: D0C90054 0003B7A9
	s_nop 0                                                    // 00000000B8F8: BF800000
	v_cndmask_b32_e64 v6, v225, v6, s[84:85]                   // 00000000B8FC: D1000006 01520DE1
	v_add_u32_e32 v169, 3, v168                                // 00000000B904: 69535083
	v_cmp_lt_u32_e64 s[84:85], v169, v219                      // 00000000B908: D0C90054 0003B7A9
	s_nop 0                                                    // 00000000B910: BF800000
	v_cndmask_b32_e64 v7, v225, v7, s[84:85]                   // 00000000B914: D1000007 01520FE1
	v_add_u32_e32 v169, 64, v168                               // 00000000B91C: 695350C0
	v_cmp_lt_u32_e64 s[84:85], v169, v219                      // 00000000B920: D0C90054 0003B7A9
	s_nop 0                                                    // 00000000B928: BF800000
	v_cndmask_b32_e64 v8, v225, v8, s[84:85]                   // 00000000B92C: D1000008 015211E1
	v_add_u32_e32 v169, 0x41, v168                             // 00000000B934: 695350FF 00000041
	v_cmp_lt_u32_e64 s[84:85], v169, v219                      // 00000000B93C: D0C90054 0003B7A9
	s_nop 0                                                    // 00000000B944: BF800000
	v_cndmask_b32_e64 v9, v225, v9, s[84:85]                   // 00000000B948: D1000009 015213E1
	v_add_u32_e32 v169, 0x42, v168                             // 00000000B950: 695350FF 00000042
	v_cmp_lt_u32_e64 s[84:85], v169, v219                      // 00000000B958: D0C90054 0003B7A9
	s_nop 0                                                    // 00000000B960: BF800000
	v_cndmask_b32_e64 v10, v225, v10, s[84:85]                 // 00000000B964: D100000A 015215E1
	v_add_u32_e32 v169, 0x43, v168                             // 00000000B96C: 695350FF 00000043
	v_cmp_lt_u32_e64 s[84:85], v169, v219                      // 00000000B974: D0C90054 0003B7A9
	s_nop 0                                                    // 00000000B97C: BF800000
	v_cndmask_b32_e64 v11, v225, v11, s[84:85]                 // 00000000B980: D100000B 015217E1
	v_add_u32_e32 v169, 0x80, v168                             // 00000000B988: 695350FF 00000080
	v_cmp_lt_u32_e64 s[84:85], v169, v219                      // 00000000B990: D0C90054 0003B7A9
	s_nop 0                                                    // 00000000B998: BF800000
	v_cndmask_b32_e64 v12, v225, v12, s[84:85]                 // 00000000B99C: D100000C 015219E1
	v_add_u32_e32 v169, 0x81, v168                             // 00000000B9A4: 695350FF 00000081
	v_cmp_lt_u32_e64 s[84:85], v169, v219                      // 00000000B9AC: D0C90054 0003B7A9
	s_nop 0                                                    // 00000000B9B4: BF800000
	v_cndmask_b32_e64 v13, v225, v13, s[84:85]                 // 00000000B9B8: D100000D 01521BE1
	v_add_u32_e32 v169, 0x82, v168                             // 00000000B9C0: 695350FF 00000082
	v_cmp_lt_u32_e64 s[84:85], v169, v219                      // 00000000B9C8: D0C90054 0003B7A9
	s_nop 0                                                    // 00000000B9D0: BF800000
	v_cndmask_b32_e64 v14, v225, v14, s[84:85]                 // 00000000B9D4: D100000E 01521DE1
	v_add_u32_e32 v169, 0x83, v168                             // 00000000B9DC: 695350FF 00000083
	v_cmp_lt_u32_e64 s[84:85], v169, v219                      // 00000000B9E4: D0C90054 0003B7A9
	s_nop 0                                                    // 00000000B9EC: BF800000
	v_cndmask_b32_e64 v15, v225, v15, s[84:85]                 // 00000000B9F0: D100000F 01521FE1
	v_add_u32_e32 v169, 0xc0, v168                             // 00000000B9F8: 695350FF 000000C0
	v_cmp_lt_u32_e64 s[84:85], v169, v219                      // 00000000BA00: D0C90054 0003B7A9
	s_nop 0                                                    // 00000000BA08: BF800000
	v_cndmask_b32_e64 v16, v225, v16, s[84:85]                 // 00000000BA0C: D1000010 015221E1
	v_add_u32_e32 v169, 0xc1, v168                             // 00000000BA14: 695350FF 000000C1
	v_cmp_lt_u32_e64 s[84:85], v169, v219                      // 00000000BA1C: D0C90054 0003B7A9
	s_nop 0                                                    // 00000000BA24: BF800000
	v_cndmask_b32_e64 v17, v225, v17, s[84:85]                 // 00000000BA28: D1000011 015223E1
	v_add_u32_e32 v169, 0xc2, v168                             // 00000000BA30: 695350FF 000000C2
	v_cmp_lt_u32_e64 s[84:85], v169, v219                      // 00000000BA38: D0C90054 0003B7A9
	s_nop 0                                                    // 00000000BA40: BF800000
	v_cndmask_b32_e64 v18, v225, v18, s[84:85]                 // 00000000BA44: D1000012 015225E1
	v_add_u32_e32 v169, 0xc3, v168                             // 00000000BA4C: 695350FF 000000C3
	v_cmp_lt_u32_e64 s[84:85], v169, v219                      // 00000000BA54: D0C90054 0003B7A9
	s_nop 0                                                    // 00000000BA5C: BF800000
	v_cndmask_b32_e64 v19, v225, v19, s[84:85]                 // 00000000BA60: D1000013 015227E1
	v_add_u32_e32 v169, 0, v168                                // 00000000BA68: 69535080
	v_cmp_lt_u32_e64 s[84:85], v169, v220                      // 00000000BA6C: D0C90054 0003B9A9
	s_nop 0                                                    // 00000000BA74: BF800000
	v_cndmask_b32_e64 v20, v225, v20, s[84:85]                 // 00000000BA78: D1000014 015229E1
	v_add_u32_e32 v169, 1, v168                                // 00000000BA80: 69535081
	v_cmp_lt_u32_e64 s[84:85], v169, v220                      // 00000000BA84: D0C90054 0003B9A9
	s_nop 0                                                    // 00000000BA8C: BF800000
	v_cndmask_b32_e64 v21, v225, v21, s[84:85]                 // 00000000BA90: D1000015 01522BE1
	v_add_u32_e32 v169, 2, v168                                // 00000000BA98: 69535082
	v_cmp_lt_u32_e64 s[84:85], v169, v220                      // 00000000BA9C: D0C90054 0003B9A9
	s_nop 0                                                    // 00000000BAA4: BF800000
	v_cndmask_b32_e64 v22, v225, v22, s[84:85]                 // 00000000BAA8: D1000016 01522DE1
	v_add_u32_e32 v169, 3, v168                                // 00000000BAB0: 69535083
	v_cmp_lt_u32_e64 s[84:85], v169, v220                      // 00000000BAB4: D0C90054 0003B9A9
	s_nop 0                                                    // 00000000BABC: BF800000
	v_cndmask_b32_e64 v23, v225, v23, s[84:85]                 // 00000000BAC0: D1000017 01522FE1
	v_add_u32_e32 v169, 64, v168                               // 00000000BAC8: 695350C0
	v_cmp_lt_u32_e64 s[84:85], v169, v220                      // 00000000BACC: D0C90054 0003B9A9
	s_nop 0                                                    // 00000000BAD4: BF800000
	v_cndmask_b32_e64 v24, v225, v24, s[84:85]                 // 00000000BAD8: D1000018 015231E1
	v_add_u32_e32 v169, 0x41, v168                             // 00000000BAE0: 695350FF 00000041
	v_cmp_lt_u32_e64 s[84:85], v169, v220                      // 00000000BAE8: D0C90054 0003B9A9
	s_nop 0                                                    // 00000000BAF0: BF800000
	v_cndmask_b32_e64 v25, v225, v25, s[84:85]                 // 00000000BAF4: D1000019 015233E1
	v_add_u32_e32 v169, 0x42, v168                             // 00000000BAFC: 695350FF 00000042
	v_cmp_lt_u32_e64 s[84:85], v169, v220                      // 00000000BB04: D0C90054 0003B9A9
	s_nop 0                                                    // 00000000BB0C: BF800000
	v_cndmask_b32_e64 v26, v225, v26, s[84:85]                 // 00000000BB10: D100001A 015235E1
	v_add_u32_e32 v169, 0x43, v168                             // 00000000BB18: 695350FF 00000043
	v_cmp_lt_u32_e64 s[84:85], v169, v220                      // 00000000BB20: D0C90054 0003B9A9
	s_nop 0                                                    // 00000000BB28: BF800000
	v_cndmask_b32_e64 v27, v225, v27, s[84:85]                 // 00000000BB2C: D100001B 015237E1
	v_add_u32_e32 v169, 0x80, v168                             // 00000000BB34: 695350FF 00000080
	v_cmp_lt_u32_e64 s[84:85], v169, v220                      // 00000000BB3C: D0C90054 0003B9A9
	s_nop 0                                                    // 00000000BB44: BF800000
	v_cndmask_b32_e64 v28, v225, v28, s[84:85]                 // 00000000BB48: D100001C 015239E1
	v_add_u32_e32 v169, 0x81, v168                             // 00000000BB50: 695350FF 00000081
	v_cmp_lt_u32_e64 s[84:85], v169, v220                      // 00000000BB58: D0C90054 0003B9A9
	s_nop 0                                                    // 00000000BB60: BF800000
	v_cndmask_b32_e64 v29, v225, v29, s[84:85]                 // 00000000BB64: D100001D 01523BE1
	v_add_u32_e32 v169, 0x82, v168                             // 00000000BB6C: 695350FF 00000082
	v_cmp_lt_u32_e64 s[84:85], v169, v220                      // 00000000BB74: D0C90054 0003B9A9
	s_nop 0                                                    // 00000000BB7C: BF800000
	v_cndmask_b32_e64 v30, v225, v30, s[84:85]                 // 00000000BB80: D100001E 01523DE1
	v_add_u32_e32 v169, 0x83, v168                             // 00000000BB88: 695350FF 00000083
	v_cmp_lt_u32_e64 s[84:85], v169, v220                      // 00000000BB90: D0C90054 0003B9A9
	s_nop 0                                                    // 00000000BB98: BF800000
	v_cndmask_b32_e64 v31, v225, v31, s[84:85]                 // 00000000BB9C: D100001F 01523FE1
	v_add_u32_e32 v169, 0xc0, v168                             // 00000000BBA4: 695350FF 000000C0
	v_cmp_lt_u32_e64 s[84:85], v169, v220                      // 00000000BBAC: D0C90054 0003B9A9
	s_nop 0                                                    // 00000000BBB4: BF800000
	v_cndmask_b32_e64 v32, v225, v32, s[84:85]                 // 00000000BBB8: D1000020 015241E1
	v_add_u32_e32 v169, 0xc1, v168                             // 00000000BBC0: 695350FF 000000C1
	v_cmp_lt_u32_e64 s[84:85], v169, v220                      // 00000000BBC8: D0C90054 0003B9A9
	s_nop 0                                                    // 00000000BBD0: BF800000
	v_cndmask_b32_e64 v33, v225, v33, s[84:85]                 // 00000000BBD4: D1000021 015243E1
	v_add_u32_e32 v169, 0xc2, v168                             // 00000000BBDC: 695350FF 000000C2
	v_cmp_lt_u32_e64 s[84:85], v169, v220                      // 00000000BBE4: D0C90054 0003B9A9
	s_nop 0                                                    // 00000000BBEC: BF800000
	v_cndmask_b32_e64 v34, v225, v34, s[84:85]                 // 00000000BBF0: D1000022 015245E1
	v_add_u32_e32 v169, 0xc3, v168                             // 00000000BBF8: 695350FF 000000C3
	v_cmp_lt_u32_e64 s[84:85], v169, v220                      // 00000000BC00: D0C90054 0003B9A9
	s_nop 0                                                    // 00000000BC08: BF800000
	v_cndmask_b32_e64 v35, v225, v35, s[84:85]                 // 00000000BC0C: D1000023 015247E1
	v_add_u32_e32 v168, s49, v223                              // 00000000BC14: 6951BE31
	v_add_u32_e32 v169, 0, v168                                // 00000000BC18: 69535080
	v_cmp_lt_u32_e64 s[84:85], v169, v221                      // 00000000BC1C: D0C90054 0003BBA9
	s_nop 0                                                    // 00000000BC24: BF800000
	v_cndmask_b32_e64 v36, v225, v36, s[84:85]                 // 00000000BC28: D1000024 015249E1
	v_add_u32_e32 v169, 1, v168                                // 00000000BC30: 69535081
	v_cmp_lt_u32_e64 s[84:85], v169, v221                      // 00000000BC34: D0C90054 0003BBA9
	s_nop 0                                                    // 00000000BC3C: BF800000
	v_cndmask_b32_e64 v37, v225, v37, s[84:85]                 // 00000000BC40: D1000025 01524BE1
	v_add_u32_e32 v169, 2, v168                                // 00000000BC48: 69535082
	v_cmp_lt_u32_e64 s[84:85], v169, v221                      // 00000000BC4C: D0C90054 0003BBA9
	s_nop 0                                                    // 00000000BC54: BF800000
	v_cndmask_b32_e64 v38, v225, v38, s[84:85]                 // 00000000BC58: D1000026 01524DE1
	v_add_u32_e32 v169, 3, v168                                // 00000000BC60: 69535083
	v_cmp_lt_u32_e64 s[84:85], v169, v221                      // 00000000BC64: D0C90054 0003BBA9
	s_nop 0                                                    // 00000000BC6C: BF800000
	v_cndmask_b32_e64 v39, v225, v39, s[84:85]                 // 00000000BC70: D1000027 01524FE1
	v_add_u32_e32 v169, 64, v168                               // 00000000BC78: 695350C0
	v_cmp_lt_u32_e64 s[84:85], v169, v221                      // 00000000BC7C: D0C90054 0003BBA9
	s_nop 0                                                    // 00000000BC84: BF800000
	v_cndmask_b32_e64 v40, v225, v40, s[84:85]                 // 00000000BC88: D1000028 015251E1
	v_add_u32_e32 v169, 0x41, v168                             // 00000000BC90: 695350FF 00000041
	v_cmp_lt_u32_e64 s[84:85], v169, v221                      // 00000000BC98: D0C90054 0003BBA9
	s_nop 0                                                    // 00000000BCA0: BF800000
	v_cndmask_b32_e64 v41, v225, v41, s[84:85]                 // 00000000BCA4: D1000029 015253E1
	v_add_u32_e32 v169, 0x42, v168                             // 00000000BCAC: 695350FF 00000042
	v_cmp_lt_u32_e64 s[84:85], v169, v221                      // 00000000BCB4: D0C90054 0003BBA9
	s_nop 0                                                    // 00000000BCBC: BF800000
	v_cndmask_b32_e64 v42, v225, v42, s[84:85]                 // 00000000BCC0: D100002A 015255E1
	v_add_u32_e32 v169, 0x43, v168                             // 00000000BCC8: 695350FF 00000043
	v_cmp_lt_u32_e64 s[84:85], v169, v221                      // 00000000BCD0: D0C90054 0003BBA9
	s_nop 0                                                    // 00000000BCD8: BF800000
	v_cndmask_b32_e64 v43, v225, v43, s[84:85]                 // 00000000BCDC: D100002B 015257E1
	v_mov_b32_e32 v190, v36                                    // 00000000BCE4: 7F7C0324
	v_max3_f32 v190, v36, v37, v190                            // 00000000BCE8: D1D300BE 06FA4B24
	v_max3_f32 v190, v38, v39, v190                            // 00000000BCF0: D1D300BE 06FA4F26
	v_max3_f32 v190, v40, v41, v190                            // 00000000BCF8: D1D300BE 06FA5328
	v_max3_f32 v190, v42, v43, v190                            // 00000000BD00: D1D300BE 06FA572A
	v_mov_b32_e32 v189, v20                                    // 00000000BD08: 7F7A0314
	v_max3_f32 v189, v20, v21, v189                            // 00000000BD0C: D1D300BD 06F62B14
	v_max3_f32 v189, v22, v23, v189                            // 00000000BD14: D1D300BD 06F62F16
	v_max3_f32 v189, v24, v25, v189                            // 00000000BD1C: D1D300BD 06F63318
	v_max3_f32 v189, v26, v27, v189                            // 00000000BD24: D1D300BD 06F6371A
	v_max3_f32 v189, v28, v29, v189                            // 00000000BD2C: D1D300BD 06F63B1C
	v_max3_f32 v189, v30, v31, v189                            // 00000000BD34: D1D300BD 06F63F1E
	v_max3_f32 v189, v32, v33, v189                            // 00000000BD3C: D1D300BD 06F64320
	v_max3_f32 v189, v34, v35, v189                            // 00000000BD44: D1D300BD 06F64722
	v_mov_b32_e32 v188, v4                                     // 00000000BD4C: 7F780304
	v_max3_f32 v188, v4, v5, v188                              // 00000000BD50: D1D300BC 06F20B04
	v_max3_f32 v188, v6, v7, v188                              // 00000000BD58: D1D300BC 06F20F06
	v_max3_f32 v188, v8, v9, v188                              // 00000000BD60: D1D300BC 06F21308
	v_max3_f32 v188, v10, v11, v188                            // 00000000BD68: D1D300BC 06F2170A
	v_max3_f32 v188, v12, v13, v188                            // 00000000BD70: D1D300BC 06F21B0C
	v_max3_f32 v188, v14, v15, v188                            // 00000000BD78: D1D300BC 06F21F0E
	v_max3_f32 v188, v16, v17, v188                            // 00000000BD80: D1D300BC 06F22310
	v_max3_f32 v188, v18, v19, v188                            // 00000000BD88: D1D300BC 06F22712
	v_max_f32_dpp v190, v190, v190 row_ror:8 row_mask:0xf bank_mask:0xf// 00000000BD90: 177D7CFA FF0128BE
	ds_bpermute_b32 v172, v212, v188                           // 00000000BD98: D87E0000 AC00BCD4
	ds_bpermute_b32 v173, v213, v188                           // 00000000BDA0: D87E0000 AD00BCD5
	ds_bpermute_b32 v174, v214, v188                           // 00000000BDA8: D87E0000 AE00BCD6
	ds_bpermute_b32 v175, v212, v189                           // 00000000BDB0: D87E0000 AF00BDD4
	ds_bpermute_b32 v176, v213, v189                           // 00000000BDB8: D87E0000 B000BDD5
	ds_bpermute_b32 v177, v214, v189                           // 00000000BDC0: D87E0000 B100BDD6
	ds_bpermute_b32 v178, v212, v190                           // 00000000BDC8: D87E0000 B200BED4
	ds_bpermute_b32 v179, v213, v190                           // 00000000BDD0: D87E0000 B300BED5
	ds_bpermute_b32 v180, v214, v190                           // 00000000BDD8: D87E0000 B400BED6
	v_pk_mul_f32 v[124:125], v[200:201], v[124:125]            // 00000000BDE0: D3B1407C 1802F9C8
	v_pk_mul_f32 v[126:127], v[200:201], v[126:127]            // 00000000BDE8: D3B1407E 1802FDC8
	v_pk_mul_f32 v[128:129], v[200:201], v[128:129]            // 00000000BDF0: D3B14080 180301C8
	v_pk_mul_f32 v[130:131], v[200:201], v[130:131]            // 00000000BDF8: D3B14082 180305C8
	v_pk_mul_f32 v[132:133], v[202:203], v[132:133]            // 00000000BE00: D3B14084 180309CA
	v_pk_mul_f32 v[134:135], v[202:203], v[134:135]            // 00000000BE08: D3B14086 18030DCA
	v_pk_mul_f32 v[136:137], v[202:203], v[136:137]            // 00000000BE10: D3B14088 180311CA
	v_pk_mul_f32 v[138:139], v[202:203], v[138:139]            // 00000000BE18: D3B1408A 180315CA
	v_pk_mul_f32 v[140:141], v[204:205], v[140:141]            // 00000000BE20: D3B1408C 180319CC
	v_pk_mul_f32 v[142:143], v[204:205], v[142:143]            // 00000000BE28: D3B1408E 18031DCC
	v_pk_mul_f32 v[144:145], v[204:205], v[144:145]            // 00000000BE30: D3B14090 180321CC
	v_pk_mul_f32 v[146:147], v[204:205], v[146:147]            // 00000000BE38: D3B14092 180325CC
	s_waitcnt lgkmcnt(6)                                       // 00000000BE40: BF8CC67F
	v_max3_f32 v188, v172, v173, v188                          // 00000000BE44: D1D300BC 06F35BAC
	v_max_f32_e32 v188, v174, v188                             // 00000000BE4C: 177979AE
	s_waitcnt lgkmcnt(3)                                       // 00000000BE50: BF8CC37F
	v_max3_f32 v189, v175, v176, v189                          // 00000000BE54: D1D300BD 06F761AF
	v_max_f32_e32 v189, v177, v189                             // 00000000BE5C: 177B7BB1
	s_waitcnt lgkmcnt(0)                                       // 00000000BE60: BF8CC07F
	v_max3_f32 v190, v178, v179, v190                          // 00000000BE64: D1D300BE 06FB67B2
	v_max_f32_e32 v190, v180, v190                             // 00000000BE6C: 177D7DB4
	ds_write_b128 v246, v[188:191]                             // 00000000BE70: D9BE0000 0000BCF6
	s_waitcnt lgkmcnt(0)                                       // 00000000BE78: BF8CC07F
	s_barrier                                                  // 00000000BE7C: BF8A0000
	ds_read_b128 v[172:175], v247                              // 00000000BE80: D9FE0000 AC0000F7
	ds_read_b128 v[176:179], v247 offset:256                   // 00000000BE88: D9FE0100 B00000F7
	ds_read_b128 v[180:183], v247 offset:512                   // 00000000BE90: D9FE0200 B40000F7
	ds_read_b128 v[184:187], v247 offset:768                   // 00000000BE98: D9FE0300 B80000F7
	v_pk_mul_f32 v[100:101], v[158:159], v[100:101]            // 00000000BEA0: D3B14064 1802C99E
	v_pk_mul_f32 v[102:103], v[158:159], v[102:103]            // 00000000BEA8: D3B14066 1802CD9E
	v_pk_mul_f32 v[104:105], v[158:159], v[104:105]            // 00000000BEB0: D3B14068 1802D19E
	v_pk_mul_f32 v[106:107], v[158:159], v[106:107]            // 00000000BEB8: D3B1406A 1802D59E
	v_pk_mul_f32 v[108:109], v[160:161], v[108:109]            // 00000000BEC0: D3B1406C 1802D9A0
	v_pk_mul_f32 v[110:111], v[160:161], v[110:111]            // 00000000BEC8: D3B1406E 1802DDA0
	v_pk_mul_f32 v[112:113], v[160:161], v[112:113]            // 00000000BED0: D3B14070 1802E1A0
	v_pk_mul_f32 v[114:115], v[160:161], v[114:115]            // 00000000BED8: D3B14072 1802E5A0
	v_pk_mul_f32 v[116:117], v[162:163], v[116:117]            // 00000000BEE0: D3B14074 1802E9A2
	v_pk_mul_f32 v[118:119], v[162:163], v[118:119]            // 00000000BEE8: D3B14076 1802EDA2
	v_pk_mul_f32 v[120:121], v[162:163], v[120:121]            // 00000000BEF0: D3B14078 1802F1A2
	v_pk_mul_f32 v[122:123], v[162:163], v[122:123]            // 00000000BEF8: D3B1407A 1802F5A2
	s_waitcnt lgkmcnt(0)                                       // 00000000BF00: BF8CC07F
	v_max3_f32 v188, v172, v176, v188                          // 00000000BF04: D1D300BC 06F361AC
	v_max3_f32 v189, v173, v177, v189                          // 00000000BF0C: D1D300BD 06F763AD
	v_max3_f32 v190, v174, v178, v190                          // 00000000BF14: D1D300BE 06FB65AE
	v_max3_f32 v188, v180, v184, v188                          // 00000000BF1C: D1D300BC 06F371B4
	v_max3_f32 v189, v181, v185, v189                          // 00000000BF24: D1D300BD 06F773B5
	v_max3_f32 v190, v182, v186, v190                          // 00000000BF2C: D1D300BE 06FB75B6
	v_max_f32_e32 v197, v188, v194                             // 00000000BF34: 178B85BC
	v_mul_f32_e64 v168, -s51, v197                             // 00000000BF38: D10500A8 20038A33
	v_mov_b32_e32 v169, v168                                   // 00000000BF40: 7F5203A8
	v_pk_fma_f32 v[4:5], v[4:5], s[86:87], v[168:169]          // 00000000BF44: D3B04004 1EA0AD04
	v_pk_fma_f32 v[6:7], v[6:7], s[86:87], v[168:169]          // 00000000BF4C: D3B04006 1EA0AD06
	v_exp_f32_e32 v4, v4                                       // 00000000BF54: 7E084104
	v_exp_f32_e32 v5, v5                                       // 00000000BF58: 7E0A4105
	v_exp_f32_e32 v6, v6                                       // 00000000BF5C: 7E0C4106
	v_exp_f32_e32 v7, v7                                       // 00000000BF60: 7E0E4107
	v_pk_fma_f32 v[8:9], v[8:9], s[86:87], v[168:169]          // 00000000BF64: D3B04008 1EA0AD08
	v_pk_fma_f32 v[10:11], v[10:11], s[86:87], v[168:169]      // 00000000BF6C: D3B0400A 1EA0AD0A
	v_exp_f32_e32 v8, v8                                       // 00000000BF74: 7E104108
	v_exp_f32_e32 v9, v9                                       // 00000000BF78: 7E124109
	v_exp_f32_e32 v10, v10                                     // 00000000BF7C: 7E14410A
	v_exp_f32_e32 v11, v11                                     // 00000000BF80: 7E16410B
	v_pk_fma_f32 v[12:13], v[12:13], s[86:87], v[168:169]      // 00000000BF84: D3B0400C 1EA0AD0C
	v_pk_fma_f32 v[14:15], v[14:15], s[86:87], v[168:169]      // 00000000BF8C: D3B0400E 1EA0AD0E
	v_exp_f32_e32 v12, v12                                     // 00000000BF94: 7E18410C
	v_exp_f32_e32 v13, v13                                     // 00000000BF98: 7E1A410D
	v_exp_f32_e32 v14, v14                                     // 00000000BF9C: 7E1C410E
	v_exp_f32_e32 v15, v15                                     // 00000000BFA0: 7E1E410F
	v_pk_fma_f32 v[16:17], v[16:17], s[86:87], v[168:169]      // 00000000BFA4: D3B04010 1EA0AD10
	v_pk_fma_f32 v[18:19], v[18:19], s[86:87], v[168:169]      // 00000000BFAC: D3B04012 1EA0AD12
	v_exp_f32_e32 v16, v16                                     // 00000000BFB4: 7E204110
	v_exp_f32_e32 v17, v17                                     // 00000000BFB8: 7E224111
	v_exp_f32_e32 v18, v18                                     // 00000000BFBC: 7E244112
	v_exp_f32_e32 v19, v19                                     // 00000000BFC0: 7E264113
	v_max_f32_e32 v198, v189, v195                             // 00000000BFC4: 178D87BD
	v_mul_f32_e64 v168, -s51, v198                             // 00000000BFC8: D10500A8 20038C33
	v_mov_b32_e32 v169, v168                                   // 00000000BFD0: 7F5203A8
	v_pk_fma_f32 v[20:21], v[20:21], s[86:87], v[168:169]      // 00000000BFD4: D3B04014 1EA0AD14
	v_pk_fma_f32 v[22:23], v[22:23], s[86:87], v[168:169]      // 00000000BFDC: D3B04016 1EA0AD16
	v_exp_f32_e32 v20, v20                                     // 00000000BFE4: 7E284114
	v_exp_f32_e32 v21, v21                                     // 00000000BFE8: 7E2A4115
	v_exp_f32_e32 v22, v22                                     // 00000000BFEC: 7E2C4116
	v_exp_f32_e32 v23, v23                                     // 00000000BFF0: 7E2E4117
	v_pk_fma_f32 v[24:25], v[24:25], s[86:87], v[168:169]      // 00000000BFF4: D3B04018 1EA0AD18
	v_pk_fma_f32 v[26:27], v[26:27], s[86:87], v[168:169]      // 00000000BFFC: D3B0401A 1EA0AD1A
	v_exp_f32_e32 v24, v24                                     // 00000000C004: 7E304118
	v_exp_f32_e32 v25, v25                                     // 00000000C008: 7E324119
	v_exp_f32_e32 v26, v26                                     // 00000000C00C: 7E34411A
	v_exp_f32_e32 v27, v27                                     // 00000000C010: 7E36411B
	v_pk_fma_f32 v[28:29], v[28:29], s[86:87], v[168:169]      // 00000000C014: D3B0401C 1EA0AD1C
	v_pk_fma_f32 v[30:31], v[30:31], s[86:87], v[168:169]      // 00000000C01C: D3B0401E 1EA0AD1E
	v_exp_f32_e32 v28, v28                                     // 00000000C024: 7E38411C
	v_exp_f32_e32 v29, v29                                     // 00000000C028: 7E3A411D
	v_exp_f32_e32 v30, v30                                     // 00000000C02C: 7E3C411E
	v_exp_f32_e32 v31, v31                                     // 00000000C030: 7E3E411F
	v_pk_fma_f32 v[32:33], v[32:33], s[86:87], v[168:169]      // 00000000C034: D3B04020 1EA0AD20
	v_pk_fma_f32 v[34:35], v[34:35], s[86:87], v[168:169]      // 00000000C03C: D3B04022 1EA0AD22
	v_exp_f32_e32 v32, v32                                     // 00000000C044: 7E404120
	v_exp_f32_e32 v33, v33                                     // 00000000C048: 7E424121
	v_exp_f32_e32 v34, v34                                     // 00000000C04C: 7E444122
	v_exp_f32_e32 v35, v35                                     // 00000000C050: 7E464123
	v_max_f32_e32 v199, v190, v196                             // 00000000C054: 178F89BE
	v_mul_f32_e64 v168, -s51, v199                             // 00000000C058: D10500A8 20038E33
	v_mov_b32_e32 v169, v168                                   // 00000000C060: 7F5203A8
	v_pk_fma_f32 v[36:37], v[36:37], s[86:87], v[168:169]      // 00000000C064: D3B04024 1EA0AD24
	v_pk_fma_f32 v[38:39], v[38:39], s[86:87], v[168:169]      // 00000000C06C: D3B04026 1EA0AD26
	v_exp_f32_e32 v36, v36                                     // 00000000C074: 7E484124
	v_exp_f32_e32 v37, v37                                     // 00000000C078: 7E4A4125
	v_exp_f32_e32 v38, v38                                     // 00000000C07C: 7E4C4126
	v_exp_f32_e32 v39, v39                                     // 00000000C080: 7E4E4127
	v_pk_fma_f32 v[40:41], v[40:41], s[86:87], v[168:169]      // 00000000C084: D3B04028 1EA0AD28
	v_pk_fma_f32 v[42:43], v[42:43], s[86:87], v[168:169]      // 00000000C08C: D3B0402A 1EA0AD2A
	v_exp_f32_e32 v40, v40                                     // 00000000C094: 7E504128
	v_exp_f32_e32 v41, v41                                     // 00000000C098: 7E524129
	v_exp_f32_e32 v42, v42                                     // 00000000C09C: 7E54412A
	v_exp_f32_e32 v43, v43                                     // 00000000C0A0: 7E56412B
	v_mul_f32_dpp v52, v156, v4 row_newbcast:0 row_mask:0xf bank_mask:0xf// 00000000C0A4: 0A6808FA FF01509C
	v_mul_f32_dpp v53, v156, v5 row_newbcast:1 row_mask:0xf bank_mask:0xf// 00000000C0AC: 0A6A0AFA FF01519C
	v_mul_f32_dpp v54, v156, v6 row_newbcast:2 row_mask:0xf bank_mask:0xf// 00000000C0B4: 0A6C0CFA FF01529C
	v_mul_f32_dpp v55, v156, v7 row_newbcast:3 row_mask:0xf bank_mask:0xf// 00000000C0BC: 0A6E0EFA FF01539C
	v_mul_f32_dpp v56, v156, v8 row_newbcast:4 row_mask:0xf bank_mask:0xf// 00000000C0C4: 0A7010FA FF01549C
	v_mul_f32_dpp v57, v156, v9 row_newbcast:5 row_mask:0xf bank_mask:0xf// 00000000C0CC: 0A7212FA FF01559C
	v_mul_f32_dpp v58, v156, v10 row_newbcast:6 row_mask:0xf bank_mask:0xf// 00000000C0D4: 0A7414FA FF01569C
	v_mul_f32_dpp v59, v156, v11 row_newbcast:7 row_mask:0xf bank_mask:0xf// 00000000C0DC: 0A7616FA FF01579C
	v_mul_f32_dpp v60, v156, v12 row_newbcast:8 row_mask:0xf bank_mask:0xf// 00000000C0E4: 0A7818FA FF01589C
	v_mul_f32_dpp v61, v156, v13 row_newbcast:9 row_mask:0xf bank_mask:0xf// 00000000C0EC: 0A7A1AFA FF01599C
	v_mul_f32_dpp v62, v156, v14 row_newbcast:10 row_mask:0xf bank_mask:0xf// 00000000C0F4: 0A7C1CFA FF015A9C
	v_mul_f32_dpp v63, v156, v15 row_newbcast:11 row_mask:0xf bank_mask:0xf// 00000000C0FC: 0A7E1EFA FF015B9C
	v_mul_f32_dpp v64, v156, v16 row_newbcast:12 row_mask:0xf bank_mask:0xf// 00000000C104: 0A8020FA FF015C9C
	v_mul_f32_dpp v65, v156, v17 row_newbcast:13 row_mask:0xf bank_mask:0xf// 00000000C10C: 0A8222FA FF015D9C
	v_mul_f32_dpp v66, v156, v18 row_newbcast:14 row_mask:0xf bank_mask:0xf// 00000000C114: 0A8424FA FF015E9C
	v_mul_f32_dpp v67, v156, v19 row_newbcast:15 row_mask:0xf bank_mask:0xf// 00000000C11C: 0A8626FA FF015F9C
	v_mul_f32_dpp v68, v156, v20 row_newbcast:0 row_mask:0xf bank_mask:0xf// 00000000C124: 0A8828FA FF01509C
	v_mul_f32_dpp v69, v156, v21 row_newbcast:1 row_mask:0xf bank_mask:0xf// 00000000C12C: 0A8A2AFA FF01519C
	v_mul_f32_dpp v70, v156, v22 row_newbcast:2 row_mask:0xf bank_mask:0xf// 00000000C134: 0A8C2CFA FF01529C
	v_mul_f32_dpp v71, v156, v23 row_newbcast:3 row_mask:0xf bank_mask:0xf// 00000000C13C: 0A8E2EFA FF01539C
	v_mul_f32_dpp v72, v156, v24 row_newbcast:4 row_mask:0xf bank_mask:0xf// 00000000C144: 0A9030FA FF01549C
	v_mul_f32_dpp v73, v156, v25 row_newbcast:5 row_mask:0xf bank_mask:0xf// 00000000C14C: 0A9232FA FF01559C
	v_mul_f32_dpp v74, v156, v26 row_newbcast:6 row_mask:0xf bank_mask:0xf// 00000000C154: 0A9434FA FF01569C
	v_mul_f32_dpp v75, v156, v27 row_newbcast:7 row_mask:0xf bank_mask:0xf// 00000000C15C: 0A9636FA FF01579C
	v_mul_f32_dpp v76, v156, v28 row_newbcast:8 row_mask:0xf bank_mask:0xf// 00000000C164: 0A9838FA FF01589C
	v_mul_f32_dpp v77, v156, v29 row_newbcast:9 row_mask:0xf bank_mask:0xf// 00000000C16C: 0A9A3AFA FF01599C
	v_mul_f32_dpp v78, v156, v30 row_newbcast:10 row_mask:0xf bank_mask:0xf// 00000000C174: 0A9C3CFA FF015A9C
	v_mul_f32_dpp v79, v156, v31 row_newbcast:11 row_mask:0xf bank_mask:0xf// 00000000C17C: 0A9E3EFA FF015B9C
	v_mul_f32_dpp v80, v156, v32 row_newbcast:12 row_mask:0xf bank_mask:0xf// 00000000C184: 0AA040FA FF015C9C
	v_mul_f32_dpp v81, v156, v33 row_newbcast:13 row_mask:0xf bank_mask:0xf// 00000000C18C: 0AA242FA FF015D9C
	v_mul_f32_dpp v82, v156, v34 row_newbcast:14 row_mask:0xf bank_mask:0xf// 00000000C194: 0AA444FA FF015E9C
	v_mul_f32_dpp v83, v156, v35 row_newbcast:15 row_mask:0xf bank_mask:0xf// 00000000C19C: 0AA646FA FF015F9C
	v_mul_f32_dpp v84, v166, v36 quad_perm:[0,0,0,0] row_mask:0xf bank_mask:0xf// 00000000C1A4: 0AA848FA FF0000A6
	v_mul_f32_dpp v85, v166, v37 quad_perm:[1,1,1,1] row_mask:0xf bank_mask:0xf// 00000000C1AC: 0AAA4AFA FF0055A6
	v_mul_f32_dpp v86, v166, v38 quad_perm:[2,2,2,2] row_mask:0xf bank_mask:0xf// 00000000C1B4: 0AAC4CFA FF00AAA6
	v_mul_f32_dpp v87, v166, v39 quad_perm:[3,3,3,3] row_mask:0xf bank_mask:0xf// 00000000C1BC: 0AAE4EFA FF00FFA6
	v_mul_f32_dpp v88, v167, v40 quad_perm:[0,0,0,0] row_mask:0xf bank_mask:0xf// 00000000C1C4: 0AB050FA FF0000A7
	v_mul_f32_dpp v89, v167, v41 quad_perm:[1,1,1,1] row_mask:0xf bank_mask:0xf// 00000000C1CC: 0AB252FA FF0055A7
	v_mul_f32_dpp v90, v167, v42 quad_perm:[2,2,2,2] row_mask:0xf bank_mask:0xf// 00000000C1D4: 0AB454FA FF00AAA7
	v_mul_f32_dpp v91, v167, v43 quad_perm:[3,3,3,3] row_mask:0xf bank_mask:0xf// 00000000C1DC: 0AB656FA FF00FFA7
	v_mov_b32_e32 v190, 0x358637bd                             // 00000000C1E4: 7F7C02FF 358637BD
	v_max3_f32 v190, |v84|, |v85|, v190                        // 00000000C1EC: D1D303BE 06FAAB54
	v_max3_f32 v190, |v86|, |v87|, v190                        // 00000000C1F4: D1D303BE 06FAAF56
	v_max3_f32 v190, |v88|, |v89|, v190                        // 00000000C1FC: D1D303BE 06FAB358
	v_max3_f32 v190, |v90|, |v91|, v190                        // 00000000C204: D1D303BE 06FAB75A
	v_mov_b32_e32 v189, 0x358637bd                             // 00000000C20C: 7F7A02FF 358637BD
	v_max3_f32 v189, |v68|, |v69|, v189                        // 00000000C214: D1D303BD 06F68B44
	v_max3_f32 v189, |v70|, |v71|, v189                        // 00000000C21C: D1D303BD 06F68F46
	v_max3_f32 v189, |v72|, |v73|, v189                        // 00000000C224: D1D303BD 06F69348
	v_max3_f32 v189, |v74|, |v75|, v189                        // 00000000C22C: D1D303BD 06F6974A
	v_max3_f32 v189, |v76|, |v77|, v189                        // 00000000C234: D1D303BD 06F69B4C
	v_max3_f32 v189, |v78|, |v79|, v189                        // 00000000C23C: D1D303BD 06F69F4E
	v_max3_f32 v189, |v80|, |v81|, v189                        // 00000000C244: D1D303BD 06F6A350
	v_max3_f32 v189, |v82|, |v83|, v189                        // 00000000C24C: D1D303BD 06F6A752
	v_mov_b32_e32 v188, 0x358637bd                             // 00000000C254: 7F7802FF 358637BD
	v_max3_f32 v188, |v52|, |v53|, v188                        // 00000000C25C: D1D303BC 06F26B34
	v_max3_f32 v188, |v54|, |v55|, v188                        // 00000000C264: D1D303BC 06F26F36
	v_max3_f32 v188, |v56|, |v57|, v188                        // 00000000C26C: D1D303BC 06F27338
	v_max3_f32 v188, |v58|, |v59|, v188                        // 00000000C274: D1D303BC 06F2773A
	v_max3_f32 v188, |v60|, |v61|, v188                        // 00000000C27C: D1D303BC 06F27B3C
	v_max3_f32 v188, |v62|, |v63|, v188                        // 00000000C284: D1D303BC 06F27F3E
	v_max3_f32 v188, |v64|, |v65|, v188                        // 00000000C28C: D1D303BC 06F28340
	v_max3_f32 v188, |v66|, |v67|, v188                        // 00000000C294: D1D303BC 06F28742
	v_max_f32_dpp v190, v190, v190 row_ror:8 row_mask:0xf bank_mask:0xf// 00000000C29C: 177D7CFA FF0128BE
	ds_bpermute_b32 v172, v212, v188                           // 00000000C2A4: D87E0000 AC00BCD4
	ds_bpermute_b32 v173, v213, v188                           // 00000000C2AC: D87E0000 AD00BCD5
	ds_bpermute_b32 v174, v214, v188                           // 00000000C2B4: D87E0000 AE00BCD6
	ds_bpermute_b32 v175, v212, v189                           // 00000000C2BC: D87E0000 AF00BDD4
	ds_bpermute_b32 v176, v213, v189                           // 00000000C2C4: D87E0000 B000BDD5
	ds_bpermute_b32 v177, v214, v189                           // 00000000C2CC: D87E0000 B100BDD6
	ds_bpermute_b32 v178, v212, v190                           // 00000000C2D4: D87E0000 B200BED4
	ds_bpermute_b32 v179, v213, v190                           // 00000000C2DC: D87E0000 B300BED5
	ds_bpermute_b32 v180, v214, v190                           // 00000000C2E4: D87E0000 B400BED6
	s_waitcnt lgkmcnt(6)                                       // 00000000C2EC: BF8CC67F
	v_max3_f32 v188, v172, v173, v188                          // 00000000C2F0: D1D300BC 06F35BAC
	v_max_f32_e32 v188, v174, v188                             // 00000000C2F8: 177979AE
	s_waitcnt lgkmcnt(3)                                       // 00000000C2FC: BF8CC37F
	v_max3_f32 v189, v175, v176, v189                          // 00000000C300: D1D300BD 06F761AF
	v_max_f32_e32 v189, v177, v189                             // 00000000C308: 177B7BB1
	s_waitcnt lgkmcnt(0)                                       // 00000000C30C: BF8CC07F
	v_max3_f32 v190, v178, v179, v190                          // 00000000C310: D1D300BE 06FB67B2
	v_max_f32_e32 v190, v180, v190                             // 00000000C318: 177D7DB4
	ds_write_b128 v246, v[188:191] offset:4096                 // 00000000C31C: D9BE1000 0000BCF6
	buffer_load_dword v155, v238, s[28:31], 0 offen            // 00000000C324: E0501000 80079BEE
	v_sub_f32_e32 v200, v194, v197                             // 00000000C32C: 05918BC2
	v_cmp_eq_u32_e64 s[84:85], v225, v194                      // 00000000C330: D0CA0054 000385E1
	v_cndmask_b32_e64 v200, v200, 0, s[84:85]                  // 00000000C338: D10000C8 015101C8
	v_mov_b32_e32 v194, v197                                   // 00000000C340: 7F8403C5
	v_mul_f32_e32 v200, s51, v200                              // 00000000C344: 0B919033
	v_exp_f32_e32 v200, v200                                   // 00000000C348: 7F9041C8
	v_sub_f32_e32 v202, v195, v198                             // 00000000C34C: 05958DC3
	v_cmp_eq_u32_e64 s[84:85], v225, v195                      // 00000000C350: D0CA0054 000387E1
	v_cndmask_b32_e64 v202, v202, 0, s[84:85]                  // 00000000C358: D10000CA 015101CA
	v_mov_b32_e32 v195, v198                                   // 00000000C360: 7F8603C6
	v_mul_f32_e32 v202, s51, v202                              // 00000000C364: 0B959433
	v_exp_f32_e32 v202, v202                                   // 00000000C368: 7F9441CA
	v_sub_f32_e32 v204, v196, v199                             // 00000000C36C: 05998FC4
	v_cmp_eq_u32_e64 s[84:85], v225, v196                      // 00000000C370: D0CA0054 000389E1
	v_cndmask_b32_e64 v204, v204, 0, s[84:85]                  // 00000000C378: D10000CC 015101CC
	v_mov_b32_e32 v196, v199                                   // 00000000C380: 7F8803C7
	v_mul_f32_e32 v204, s51, v204                              // 00000000C384: 0B999833
	v_exp_f32_e32 v204, v204                                   // 00000000C388: 7F9841CC
	v_mov_b32_e32 v201, v200                                   // 00000000C38C: 7F9203C8
	v_mov_b32_e32 v203, v202                                   // 00000000C390: 7F9603CA
	v_mov_b32_e32 v205, v204                                   // 00000000C394: 7F9A03CC
	s_waitcnt lgkmcnt(0)                                       // 00000000C398: BF8CC07F
	s_barrier                                                  // 00000000C39C: BF8A0000
	ds_read_b128 v[172:175], v247 offset:4096                  // 00000000C3A0: D9FE1000 AC0000F7
	ds_read_b128 v[176:179], v247 offset:4352                  // 00000000C3A8: D9FE1100 B00000F7
	ds_read_b128 v[180:183], v247 offset:4608                  // 00000000C3B0: D9FE1200 B40000F7
	ds_read_b128 v[184:187], v247 offset:4864                  // 00000000C3B8: D9FE1300 B80000F7
	buffer_load_dword v157, v239, s[32:35], 0 offen            // 00000000C3C0: E0501000 80089DEF
	v_mul_f32_e32 v206, v200, v206                             // 00000000C3C8: 0B9D9DC8
	v_mov_b32_e32 v207, 0                                      // 00000000C3CC: 7F9E0280
	v_pk_add_f32 v[206:207], v[4:5], v[206:207]                // 00000000C3D0: D3B240CE 18039D04
	v_pk_add_f32 v[206:207], v[6:7], v[206:207]                // 00000000C3D8: D3B240CE 18039D06
	v_pk_add_f32 v[206:207], v[8:9], v[206:207]                // 00000000C3E0: D3B240CE 18039D08
	v_pk_add_f32 v[206:207], v[10:11], v[206:207]              // 00000000C3E8: D3B240CE 18039D0A
	v_pk_add_f32 v[206:207], v[12:13], v[206:207]              // 00000000C3F0: D3B240CE 18039D0C
	v_pk_add_f32 v[206:207], v[14:15], v[206:207]              // 00000000C3F8: D3B240CE 18039D0E
	v_pk_add_f32 v[206:207], v[16:17], v[206:207]              // 00000000C400: D3B240CE 18039D10
	v_pk_add_f32 v[206:207], v[18:19], v[206:207]              // 00000000C408: D3B240CE 18039D12
	v_add_f32_e32 v206, v207, v206                             // 00000000C410: 039D9DCF
	v_mul_f32_e32 v208, v202, v208                             // 00000000C414: 0BA1A1CA
	v_mov_b32_e32 v209, 0                                      // 00000000C418: 7FA20280
	v_pk_add_f32 v[208:209], v[20:21], v[208:209]              // 00000000C41C: D3B240D0 1803A114
	v_pk_add_f32 v[208:209], v[22:23], v[208:209]              // 00000000C424: D3B240D0 1803A116
	v_pk_add_f32 v[208:209], v[24:25], v[208:209]              // 00000000C42C: D3B240D0 1803A118
	v_pk_add_f32 v[208:209], v[26:27], v[208:209]              // 00000000C434: D3B240D0 1803A11A
	v_pk_add_f32 v[208:209], v[28:29], v[208:209]              // 00000000C43C: D3B240D0 1803A11C
	v_pk_add_f32 v[208:209], v[30:31], v[208:209]              // 00000000C444: D3B240D0 1803A11E
	v_pk_add_f32 v[208:209], v[32:33], v[208:209]              // 00000000C44C: D3B240D0 1803A120
	v_pk_add_f32 v[208:209], v[34:35], v[208:209]              // 00000000C454: D3B240D0 1803A122
	v_add_f32_e32 v208, v209, v208                             // 00000000C45C: 03A1A1D1
	v_mul_f32_e32 v210, v204, v210                             // 00000000C460: 0BA5A5CC
	v_mov_b32_e32 v211, 0                                      // 00000000C464: 7FA60280
	v_pk_add_f32 v[210:211], v[36:37], v[210:211]              // 00000000C468: D3B240D2 1803A524
	v_pk_add_f32 v[210:211], v[38:39], v[210:211]              // 00000000C470: D3B240D2 1803A526
	v_pk_add_f32 v[210:211], v[40:41], v[210:211]              // 00000000C478: D3B240D2 1803A528
	v_pk_add_f32 v[210:211], v[42:43], v[210:211]              // 00000000C480: D3B240D2 1803A52A
	v_add_f32_e32 v210, v211, v210                             // 00000000C488: 03A5A5D3
	s_waitcnt lgkmcnt(0)                                       // 00000000C48C: BF8CC07F
	v_max3_f32 v188, v172, v176, v188                          // 00000000C490: D1D300BC 06F361AC
	v_max3_f32 v189, v173, v177, v189                          // 00000000C498: D1D300BD 06F763AD
	v_max3_f32 v190, v174, v178, v190                          // 00000000C4A0: D1D300BE 06FB65AE
	v_max3_f32 v188, v180, v184, v188                          // 00000000C4A8: D1D300BC 06F371B4
	v_max3_f32 v189, v181, v185, v189                          // 00000000C4B0: D1D300BD 06F773B5
	v_max3_f32 v190, v182, v186, v190                          // 00000000C4B8: D1D300BE 06FB75B6
	v_rcp_f32_e32 v188, v188                                   // 00000000C4C0: 7F7845BC
	v_rcp_f32_e32 v189, v189                                   // 00000000C4C4: 7F7A45BD
	v_rcp_f32_e32 v190, v190                                   // 00000000C4C8: 7F7C45BE
	v_mul_f32_e32 v188, 0x43700000, v188                       // 00000000C4CC: 0B7978FF 43700000
	v_mul_f32_e32 v189, 0x43700000, v189                       // 00000000C4D4: 0B7B7AFF 43700000
	v_mul_f32_e32 v190, 0x43700000, v190                       // 00000000C4DC: 0B7D7CFF 43700000
	v_mov_b32_e32 v192, v190                                   // 00000000C4E4: 7F8003BE
	v_mov_b32_e32 v193, v190                                   // 00000000C4E8: 7F8203BE
	v_mov_b32_e32 v190, v189                                   // 00000000C4EC: 7F7C03BD
	v_mov_b32_e32 v191, v189                                   // 00000000C4F0: 7F7E03BD
	v_mov_b32_e32 v189, v188                                   // 00000000C4F4: 7F7A03BC
	v_pk_mul_f32 v[4:5], v[188:189], v[52:53]                  // 00000000C4F8: D3B14004 180269BC
	v_pk_mul_f32 v[6:7], v[188:189], v[54:55]                  // 00000000C500: D3B14006 18026DBC
	v_pk_mul_f32 v[8:9], v[188:189], v[56:57]                  // 00000000C508: D3B14008 180271BC
	v_pk_mul_f32 v[10:11], v[188:189], v[58:59]                // 00000000C510: D3B1400A 180275BC
	v_pk_mul_f32 v[12:13], v[188:189], v[60:61]                // 00000000C518: D3B1400C 180279BC
	v_pk_mul_f32 v[14:15], v[188:189], v[62:63]                // 00000000C520: D3B1400E 18027DBC
	v_pk_mul_f32 v[16:17], v[188:189], v[64:65]                // 00000000C528: D3B14010 180281BC
	v_pk_mul_f32 v[18:19], v[188:189], v[66:67]                // 00000000C530: D3B14012 180285BC
	v_pk_mul_f32 v[20:21], v[190:191], v[68:69]                // 00000000C538: D3B14014 180289BE
	v_pk_mul_f32 v[22:23], v[190:191], v[70:71]                // 00000000C540: D3B14016 18028DBE
	v_pk_mul_f32 v[24:25], v[190:191], v[72:73]                // 00000000C548: D3B14018 180291BE
	v_pk_mul_f32 v[26:27], v[190:191], v[74:75]                // 00000000C550: D3B1401A 180295BE
	v_pk_mul_f32 v[28:29], v[190:191], v[76:77]                // 00000000C558: D3B1401C 180299BE
	v_pk_mul_f32 v[30:31], v[190:191], v[78:79]                // 00000000C560: D3B1401E 18029DBE
	v_pk_mul_f32 v[32:33], v[190:191], v[80:81]                // 00000000C568: D3B14020 1802A1BE
	v_pk_mul_f32 v[34:35], v[190:191], v[82:83]                // 00000000C570: D3B14022 1802A5BE
	v_pk_mul_f32 v[36:37], v[192:193], v[84:85]                // 00000000C578: D3B14024 1802A9C0
	v_pk_mul_f32 v[38:39], v[192:193], v[86:87]                // 00000000C580: D3B14026 1802ADC0
	v_pk_mul_f32 v[40:41], v[192:193], v[88:89]                // 00000000C588: D3B14028 1802B1C0
	v_pk_mul_f32 v[42:43], v[192:193], v[90:91]                // 00000000C590: D3B1402A 1802B5C0
	v_cvt_pk_fp8_f32 v4, v4, v5                                // 00000000C598: D2A20004 00020B04
	v_cvt_pk_fp8_f32 v4, v6, v7 op_sel:[0,0,1]                 // 00000000C5A0: D2A24004 00020F06
	v_cvt_pk_fp8_f32 v5, v8, v9                                // 00000000C5A8: D2A20005 00021308
	v_cvt_pk_fp8_f32 v5, v10, v11 op_sel:[0,0,1]               // 00000000C5B0: D2A24005 0002170A
	v_cvt_pk_fp8_f32 v6, v12, v13                              // 00000000C5B8: D2A20006 00021B0C
	v_cvt_pk_fp8_f32 v6, v14, v15 op_sel:[0,0,1]               // 00000000C5C0: D2A24006 00021F0E
	v_cvt_pk_fp8_f32 v7, v16, v17                              // 00000000C5C8: D2A20007 00022310
	v_cvt_pk_fp8_f32 v7, v18, v19 op_sel:[0,0,1]               // 00000000C5D0: D2A24007 00022712
	v_cvt_pk_fp8_f32 v8, v20, v21                              // 00000000C5D8: D2A20008 00022B14
	v_cvt_pk_fp8_f32 v8, v22, v23 op_sel:[0,0,1]               // 00000000C5E0: D2A24008 00022F16
	v_cvt_pk_fp8_f32 v9, v24, v25                              // 00000000C5E8: D2A20009 00023318
	v_cvt_pk_fp8_f32 v9, v26, v27 op_sel:[0,0,1]               // 00000000C5F0: D2A24009 0002371A
	v_cvt_pk_fp8_f32 v10, v28, v29                             // 00000000C5F8: D2A2000A 00023B1C
	v_cvt_pk_fp8_f32 v10, v30, v31 op_sel:[0,0,1]              // 00000000C600: D2A2400A 00023F1E
	v_cvt_pk_fp8_f32 v11, v32, v33                             // 00000000C608: D2A2000B 00024320
	v_cvt_pk_fp8_f32 v11, v34, v35 op_sel:[0,0,1]              // 00000000C610: D2A2400B 00024722
	v_cvt_pk_fp8_f32 v12, v36, v37                             // 00000000C618: D2A2000C 00024B24
	v_cvt_pk_fp8_f32 v12, v38, v39 op_sel:[0,0,1]              // 00000000C620: D2A2400C 00024F26
	v_cvt_pk_fp8_f32 v13, v40, v41                             // 00000000C628: D2A2000D 00025328
	v_cvt_pk_fp8_f32 v13, v42, v43 op_sel:[0,0,1]              // 00000000C630: D2A2400D 0002572A
	v_mov_b32_dpp v14, v12 row_shl:8 row_mask:0xf bank_mask:0xf bound_ctrl:1// 00000000C638: 7E1C02FA FF09080C
	v_and_b32_e32 v12, v12, v224                               // 00000000C640: 2619C10C
	v_mov_b32_dpp v15, v13 row_shl:8 row_mask:0xf bank_mask:0xf bound_ctrl:1// 00000000C644: 7E1E02FA FF09080D
	v_and_b32_e32 v13, v13, v224                               // 00000000C64C: 261BC10D
	ds_write_b32 v248, v4 offset:8192                          // 00000000C650: D81A2000 000004F8
	ds_write_b32 v248, v5 offset:9216                          // 00000000C658: D81A2400 000005F8
	ds_write_b32 v248, v6 offset:10240                         // 00000000C660: D81A2800 000006F8
	ds_write_b32 v248, v7 offset:11264                         // 00000000C668: D81A2C00 000007F8
	ds_write_b32 v248, v8 offset:12288                         // 00000000C670: D81A3000 000008F8
	ds_write_b32 v248, v9 offset:13312                         // 00000000C678: D81A3400 000009F8
	ds_write_b32 v248, v10 offset:14336                        // 00000000C680: D81A3800 00000AF8
	ds_write_b32 v248, v11 offset:15360                        // 00000000C688: D81A3C00 00000BF8
	ds_write_b32 v248, v12 offset:16384                        // 00000000C690: D81A4000 00000CF8
	ds_write_b32 v248, v13 offset:17408                        // 00000000C698: D81A4400 00000DF8
	ds_write_b32 v248, v14 offset:18432                        // 00000000C6A0: D81A4800 00000EF8
	ds_write_b32 v248, v15 offset:19456                        // 00000000C6A8: D81A4C00 00000FF8
	v_rcp_f32_e32 v158, v188                                   // 00000000C6B0: 7F3C45BC
	v_rcp_f32_e32 v160, v190                                   // 00000000C6B4: 7F4045BE
	v_rcp_f32_e32 v162, v192                                   // 00000000C6B8: 7F4445C0
	v_mov_b32_e32 v159, v158                                   // 00000000C6BC: 7F3E039E
	v_mov_b32_e32 v161, v160                                   // 00000000C6C0: 7F4203A0
	v_mov_b32_e32 v163, v162                                   // 00000000C6C4: 7F4603A2
	v_pk_add_f32 v[124:125], v[124:125], v[100:101]            // 00000000C6C8: D3B2407C 1802C97C
	v_pk_add_f32 v[126:127], v[126:127], v[102:103]            // 00000000C6D0: D3B2407E 1802CD7E
	v_pk_add_f32 v[128:129], v[128:129], v[104:105]            // 00000000C6D8: D3B24080 1802D180
	v_pk_add_f32 v[130:131], v[130:131], v[106:107]            // 00000000C6E0: D3B24082 1802D582
	v_pk_add_f32 v[132:133], v[132:133], v[108:109]            // 00000000C6E8: D3B24084 1802D984
	v_pk_add_f32 v[134:135], v[134:135], v[110:111]            // 00000000C6F0: D3B24086 1802DD86
	v_pk_add_f32 v[136:137], v[136:137], v[112:113]            // 00000000C6F8: D3B24088 1802E188
	v_pk_add_f32 v[138:139], v[138:139], v[114:115]            // 00000000C700: D3B2408A 1802E58A
	v_pk_add_f32 v[140:141], v[140:141], v[116:117]            // 00000000C708: D3B2408C 1802E98C
	v_pk_add_f32 v[142:143], v[142:143], v[118:119]            // 00000000C710: D3B2408E 1802ED8E
	v_pk_add_f32 v[144:145], v[144:145], v[120:121]            // 00000000C718: D3B24090 1802F190
	v_pk_add_f32 v[146:147], v[146:147], v[122:123]            // 00000000C720: D3B24092 1802F592
	s_waitcnt lgkmcnt(0)                                       // 00000000C728: BF8CC07F
	s_barrier                                                  // 00000000C72C: BF8A0000
	ds_read_b128 v[4:7], v249 offset:8192                      // 00000000C730: D9FE2000 040000F9
	ds_read_b128 v[8:11], v249 offset:9216                     // 00000000C738: D9FE2400 080000F9
	ds_read_b128 v[12:15], v249 offset:10240                   // 00000000C740: D9FE2800 0C0000F9
	ds_read_b128 v[16:19], v249 offset:11264                   // 00000000C748: D9FE2C00 100000F9
	ds_read_b128 v[20:23], v249 offset:12288                   // 00000000C750: D9FE3000 140000F9
	ds_read_b128 v[24:27], v249 offset:13312                   // 00000000C758: D9FE3400 180000F9
	ds_read_b128 v[28:31], v249 offset:14336                   // 00000000C760: D9FE3800 1C0000F9
	ds_read_b128 v[32:35], v249 offset:15360                   // 00000000C768: D9FE3C00 200000F9
	ds_read_b128 v[36:39], v249 offset:16384                   // 00000000C770: D9FE4000 240000F9
	ds_read_b128 v[40:43], v249 offset:17408                   // 00000000C778: D9FE4400 280000F9
	ds_read_b128 v[44:47], v249 offset:18432                   // 00000000C780: D9FE4800 2C0000F9
	ds_read_b128 v[48:51], v249 offset:19456                   // 00000000C788: D9FE4C00 300000F9
	s_waitcnt vmcnt(10)                                        // 00000000C790: BF8C0F7A
	s_waitcnt lgkmcnt(11)                                      // 00000000C794: BF8CCB7F
	v_mfma_f32_16x16x32_fp8_fp8 v[100:103], a[88:89], v[4:5], 0// 00000000C798: D3F30064 0A020958
	s_addk_i32 s62, 0x1                                        // 00000000C7A0: B73E0001
	v_mfma_f32_16x16x32_fp8_fp8 v[104:107], a[104:105], v[4:5], 0// 00000000C7A4: D3F30068 0A020968
	s_cmp_lt_u32 s62, s52                                      // 00000000C7AC: BF0A343E
	s_cselect_b32 s63, 4, 0                                    // 00000000C7B0: 853F8084
	v_mfma_f32_16x16x32_fp8_fp8 v[100:103], a[90:91], v[6:7], v[100:103]// 00000000C7B4: D3F30064 0D920D5A
	buffer_load_dwordx4 a[120:123], v234, s[16:19], 0 offen    // 00000000C7BC: E05C1000 808478EA
	v_mfma_f32_16x16x32_fp8_fp8 v[104:107], a[106:107], v[6:7], v[104:107]// 00000000C7C4: D3F30068 0DA20D6A
	s_add_u32 s20, s20, s63                                    // 00000000C7CC: 80143F14
	s_addc_u32 s21, s21, 0                                     // 00000000C7D0: 82158015
	s_waitcnt lgkmcnt(10)                                      // 00000000C7D4: BF8CCA7F
	v_mfma_f32_16x16x32_fp8_fp8 v[100:103], a[92:93], v[8:9], v[100:103]// 00000000C7D8: D3F30064 0D92115C
	v_mfma_f32_16x16x32_fp8_fp8 v[104:107], a[108:109], v[8:9], v[104:107]// 00000000C7E0: D3F30068 0DA2116C
	v_mfma_f32_16x16x32_fp8_fp8 v[100:103], a[94:95], v[10:11], v[100:103]// 00000000C7E8: D3F30064 0D92155E
	buffer_load_dwordx4 a[124:127], v235, s[16:19], 0 offen    // 00000000C7F0: E05C1000 80847CEB
	v_mfma_f32_16x16x32_fp8_fp8 v[104:107], a[110:111], v[10:11], v[104:107]// 00000000C7F8: D3F30068 0DA2156E
	s_waitcnt lgkmcnt(9)                                       // 00000000C800: BF8CC97F
	v_mfma_f32_16x16x32_fp8_fp8 v[100:103], a[96:97], v[12:13], v[100:103]// 00000000C804: D3F30064 0D921960
	v_mfma_f32_16x16x32_fp8_fp8 v[104:107], a[112:113], v[12:13], v[104:107]// 00000000C80C: D3F30068 0DA21970
	v_mfma_f32_16x16x32_fp8_fp8 v[100:103], a[98:99], v[14:15], v[100:103]// 00000000C814: D3F30064 0D921D62
	buffer_load_dwordx4 a[128:131], v236, s[16:19], 0 offen    // 00000000C81C: E05C1000 808480EC
	v_mfma_f32_16x16x32_fp8_fp8 v[104:107], a[114:115], v[14:15], v[104:107]// 00000000C824: D3F30068 0DA21D72
	s_waitcnt lgkmcnt(8)                                       // 00000000C82C: BF8CC87F
	v_mfma_f32_16x16x32_fp8_fp8 v[100:103], a[100:101], v[16:17], v[100:103]// 00000000C830: D3F30064 0D922164
	v_mfma_f32_16x16x32_fp8_fp8 v[104:107], a[116:117], v[16:17], v[104:107]// 00000000C838: D3F30068 0DA22174
	v_mfma_f32_16x16x32_fp8_fp8 v[100:103], a[102:103], v[18:19], v[100:103]// 00000000C840: D3F30064 0D922566
	buffer_load_dwordx4 a[132:135], v237, s[16:19], 0 offen    // 00000000C848: E05C1000 808484ED
	v_mfma_f32_16x16x32_fp8_fp8 v[104:107], a[118:119], v[18:19], v[104:107]// 00000000C850: D3F30068 0DA22576
	s_waitcnt lgkmcnt(7)                                       // 00000000C858: BF8CC77F
	v_mfma_f32_16x16x32_fp8_fp8 v[108:111], a[88:89], v[20:21], 0// 00000000C85C: D3F3006C 0A022958
	v_mfma_f32_16x16x32_fp8_fp8 v[112:115], a[104:105], v[20:21], 0// 00000000C864: D3F30070 0A022968
	v_mfma_f32_16x16x32_fp8_fp8 v[108:111], a[90:91], v[22:23], v[108:111]// 00000000C86C: D3F3006C 0DB22D5A
	buffer_load_dwordx4 a[136:139], v234, s[16:19], 0 offen offset:1024// 00000000C874: E05C1400 808488EA
	v_mfma_f32_16x16x32_fp8_fp8 v[112:115], a[106:107], v[22:23], v[112:115]// 00000000C87C: D3F30070 0DC22D6A
	s_waitcnt lgkmcnt(6)                                       // 00000000C884: BF8CC67F
	v_mfma_f32_16x16x32_fp8_fp8 v[108:111], a[92:93], v[24:25], v[108:111]// 00000000C888: D3F3006C 0DB2315C
	v_mfma_f32_16x16x32_fp8_fp8 v[112:115], a[108:109], v[24:25], v[112:115]// 00000000C890: D3F30070 0DC2316C
	v_mfma_f32_16x16x32_fp8_fp8 v[108:111], a[94:95], v[26:27], v[108:111]// 00000000C898: D3F3006C 0DB2355E
	buffer_load_dwordx4 a[140:143], v235, s[16:19], 0 offen offset:1024// 00000000C8A0: E05C1400 80848CEB
	v_mfma_f32_16x16x32_fp8_fp8 v[112:115], a[110:111], v[26:27], v[112:115]// 00000000C8A8: D3F30070 0DC2356E
	s_waitcnt lgkmcnt(5)                                       // 00000000C8B0: BF8CC57F
	v_mfma_f32_16x16x32_fp8_fp8 v[108:111], a[96:97], v[28:29], v[108:111]// 00000000C8B4: D3F3006C 0DB23960
	v_mfma_f32_16x16x32_fp8_fp8 v[112:115], a[112:113], v[28:29], v[112:115]// 00000000C8BC: D3F30070 0DC23970
	v_mfma_f32_16x16x32_fp8_fp8 v[108:111], a[98:99], v[30:31], v[108:111]// 00000000C8C4: D3F3006C 0DB23D62
	buffer_load_dwordx4 a[144:147], v236, s[16:19], 0 offen offset:1024// 00000000C8CC: E05C1400 808490EC
	v_mfma_f32_16x16x32_fp8_fp8 v[112:115], a[114:115], v[30:31], v[112:115]// 00000000C8D4: D3F30070 0DC23D72
	s_waitcnt lgkmcnt(4)                                       // 00000000C8DC: BF8CC47F
	v_mfma_f32_16x16x32_fp8_fp8 v[108:111], a[100:101], v[32:33], v[108:111]// 00000000C8E0: D3F3006C 0DB24164
	v_mfma_f32_16x16x32_fp8_fp8 v[112:115], a[116:117], v[32:33], v[112:115]// 00000000C8E8: D3F30070 0DC24174
	v_mfma_f32_16x16x32_fp8_fp8 v[108:111], a[102:103], v[34:35], v[108:111]// 00000000C8F0: D3F3006C 0DB24566
	buffer_load_dwordx4 a[148:151], v237, s[16:19], 0 offen offset:1024// 00000000C8F8: E05C1400 808494ED
	v_mfma_f32_16x16x32_fp8_fp8 v[112:115], a[118:119], v[34:35], v[112:115]// 00000000C900: D3F30070 0DC24576
	s_waitcnt lgkmcnt(3)                                       // 00000000C908: BF8CC37F
	v_mfma_f32_16x16x32_fp8_fp8 v[116:119], a[88:89], v[36:37], 0// 00000000C90C: D3F30074 0A024958
	v_mfma_f32_16x16x32_fp8_fp8 v[120:123], a[104:105], v[36:37], 0// 00000000C914: D3F30078 0A024968
	v_mfma_f32_16x16x32_fp8_fp8 v[116:119], a[90:91], v[38:39], v[116:119]// 00000000C91C: D3F30074 0DD24D5A
	v_mfma_f32_16x16x32_fp8_fp8 v[120:123], a[106:107], v[38:39], v[120:123]// 00000000C924: D3F30078 0DE24D6A
	s_waitcnt lgkmcnt(2)                                       // 00000000C92C: BF8CC27F
	v_mfma_f32_16x16x32_fp8_fp8 v[116:119], a[92:93], v[40:41], v[116:119]// 00000000C930: D3F30074 0DD2515C
	v_mfma_f32_16x16x32_fp8_fp8 v[120:123], a[108:109], v[40:41], v[120:123]// 00000000C938: D3F30078 0DE2516C
	v_mfma_f32_16x16x32_fp8_fp8 v[116:119], a[94:95], v[42:43], v[116:119]// 00000000C940: D3F30074 0DD2555E
	v_mfma_f32_16x16x32_fp8_fp8 v[120:123], a[110:111], v[42:43], v[120:123]// 00000000C948: D3F30078 0DE2556E
	s_waitcnt lgkmcnt(1)                                       // 00000000C950: BF8CC17F
	v_mfma_f32_16x16x32_fp8_fp8 v[116:119], a[96:97], v[44:45], v[116:119]// 00000000C954: D3F30074 0DD25960
	v_mfma_f32_16x16x32_fp8_fp8 v[120:123], a[112:113], v[44:45], v[120:123]// 00000000C95C: D3F30078 0DE25970
	v_mfma_f32_16x16x32_fp8_fp8 v[116:119], a[98:99], v[46:47], v[116:119]// 00000000C964: D3F30074 0DD25D62
	v_mfma_f32_16x16x32_fp8_fp8 v[120:123], a[114:115], v[46:47], v[120:123]// 00000000C96C: D3F30078 0DE25D72
	s_waitcnt lgkmcnt(0)                                       // 00000000C974: BF8CC07F
	v_mfma_f32_16x16x32_fp8_fp8 v[116:119], a[100:101], v[48:49], v[116:119]// 00000000C978: D3F30074 0DD26164
	v_mfma_f32_16x16x32_fp8_fp8 v[120:123], a[116:117], v[48:49], v[120:123]// 00000000C980: D3F30078 0DE26174
	v_mfma_f32_16x16x32_fp8_fp8 v[116:119], a[102:103], v[50:51], v[116:119]// 00000000C988: D3F30074 0DD26566
	v_mfma_f32_16x16x32_fp8_fp8 v[120:123], a[118:119], v[50:51], v[120:123]// 00000000C990: D3F30078 0DE26576
	s_load_dword s61, s[20:21], 0x0                            // 00000000C998: C0020F4A 00000000
	s_addk_i32 s49, 0x100                                      // 00000000C9A0: B7310100
	s_branch label_3F2E                                        // 00000000C9A4: BF821504

000000000000c9a8 <label_2A2A>:
	s_cmp_lt_i32 s49, s60                                      // 00000000C9A8: BF043C31
	s_cbranch_scc0 label_3F2E                                  // 00000000C9AC: BF841502
	s_waitcnt vmcnt(10)                                        // 00000000C9B0: BF8C0F7A
	v_mfma_f32_16x16x32_fp8_fp8 v[4:7], a[56:57], a[0:1], 0    // 00000000C9B4: D3F30004 1A020138
	s_add_u32 s12, s76, s64                                    // 00000000C9BC: 800C404C
	s_addc_u32 s13, s77, 0                                     // 00000000C9C0: 820D804D
	v_mfma_f32_16x16x32_fp8_fp8 v[4:7], a[58:59], a[2:3], v[4:7]// 00000000C9C4: D3F30004 1C12053A
	s_add_u32 s16, s78, s65                                    // 00000000C9CC: 8010414E
	s_addc_u32 s17, s79, 0                                     // 00000000C9D0: 8211804F
	v_mfma_f32_16x16x32_fp8_fp8 v[4:7], a[60:61], a[4:5], v[4:7]// 00000000C9D4: D3F30004 1C12093C
	buffer_load_dwordx4 a[24:27], v232, s[12:15], 0 offen      // 00000000C9DC: E05C1000 808318E8
	v_mfma_f32_16x16x32_fp8_fp8 v[4:7], a[62:63], a[6:7], v[4:7]// 00000000C9E4: D3F30004 1C120D3E
	s_add_u32 s28, s80, s66                                    // 00000000C9EC: 801C4250
	s_addc_u32 s29, s81, 0                                     // 00000000C9F0: 821D8051
	v_mfma_f32_16x16x32_fp8_fp8 v[8:11], a[64:65], a[0:1], 0   // 00000000C9F4: D3F30008 1A020140
	s_add_u32 s32, s82, s66                                    // 00000000C9FC: 80204252
	s_addc_u32 s33, s83, 0                                     // 00000000CA00: 82218053
	v_mfma_f32_16x16x32_fp8_fp8 v[8:11], a[66:67], a[2:3], v[8:11]// 00000000CA04: D3F30008 1C220542
	s_add_u32 s64, s64, 0x1000                                 // 00000000CA0C: 8040FF40 00001000
	s_add_u32 s65, s65, 0x8000                                 // 00000000CA14: 8041FF41 00008000
	v_mfma_f32_16x16x32_fp8_fp8 v[8:11], a[68:69], a[4:5], v[8:11]// 00000000CA1C: D3F30008 1C220944
	buffer_load_dwordx4 a[28:31], v233, s[12:15], 0 offen      // 00000000CA24: E05C1000 80831CE9
	v_mfma_f32_16x16x32_fp8_fp8 v[8:11], a[70:71], a[6:7], v[8:11]// 00000000CA2C: D3F30008 1C220D46
	s_add_u32 s66, s66, 0x400                                  // 00000000CA34: 8042FF42 00000400
	v_mfma_f32_16x16x32_fp8_fp8 v[12:15], a[72:73], a[0:1], 0  // 00000000CA3C: D3F3000C 1A020148
	v_mfma_f32_16x16x32_fp8_fp8 v[12:15], a[74:75], a[2:3], v[12:15]// 00000000CA44: D3F3000C 1C32054A
	v_mfma_f32_16x16x32_fp8_fp8 v[12:15], a[76:77], a[4:5], v[12:15]// 00000000CA4C: D3F3000C 1C32094C
	buffer_load_dwordx4 a[32:35], v232, s[12:15], 0 offen offset:1024// 00000000CA54: E05C1400 808320E8
	v_mfma_f32_16x16x32_fp8_fp8 v[12:15], a[78:79], a[6:7], v[12:15]// 00000000CA5C: D3F3000C 1C320D4E
	v_mfma_f32_16x16x32_fp8_fp8 v[16:19], a[80:81], a[0:1], 0  // 00000000CA64: D3F30010 1A020150
	v_mfma_f32_16x16x32_fp8_fp8 v[16:19], a[82:83], a[2:3], v[16:19]// 00000000CA6C: D3F30010 1C420552
	v_mfma_f32_16x16x32_fp8_fp8 v[16:19], a[84:85], a[4:5], v[16:19]// 00000000CA74: D3F30010 1C420954
	buffer_load_dwordx4 a[36:39], v233, s[12:15], 0 offen offset:1024// 00000000CA7C: E05C1400 808324E9
	v_mfma_f32_16x16x32_fp8_fp8 v[16:19], a[86:87], a[6:7], v[16:19]// 00000000CA84: D3F30010 1C420D56
	v_mfma_f32_16x16x32_fp8_fp8 v[20:23], a[56:57], a[8:9], 0  // 00000000CA8C: D3F30014 1A021138
	v_mfma_f32_16x16x32_fp8_fp8 v[20:23], a[58:59], a[10:11], v[20:23]// 00000000CA94: D3F30014 1C52153A
	v_mfma_f32_16x16x32_fp8_fp8 v[20:23], a[60:61], a[12:13], v[20:23]// 00000000CA9C: D3F30014 1C52193C
	buffer_load_dwordx4 a[40:43], v232, s[12:15], 0 offen offset:2048// 00000000CAA4: E05C1800 808328E8
	v_mfma_f32_16x16x32_fp8_fp8 v[20:23], a[62:63], a[14:15], v[20:23]// 00000000CAAC: D3F30014 1C521D3E
	v_mfma_f32_16x16x32_fp8_fp8 v[24:27], a[64:65], a[8:9], 0  // 00000000CAB4: D3F30018 1A021140
	v_mfma_f32_16x16x32_fp8_fp8 v[24:27], a[66:67], a[10:11], v[24:27]// 00000000CABC: D3F30018 1C621542
	v_mfma_f32_16x16x32_fp8_fp8 v[24:27], a[68:69], a[12:13], v[24:27]// 00000000CAC4: D3F30018 1C621944
	buffer_load_dwordx4 a[44:47], v233, s[12:15], 0 offen offset:2048// 00000000CACC: E05C1800 80832CE9
	v_mfma_f32_16x16x32_fp8_fp8 v[24:27], a[70:71], a[14:15], v[24:27]// 00000000CAD4: D3F30018 1C621D46
	v_mfma_f32_16x16x32_fp8_fp8 v[28:31], a[72:73], a[8:9], 0  // 00000000CADC: D3F3001C 1A021148
	v_mfma_f32_16x16x32_fp8_fp8 v[28:31], a[74:75], a[10:11], v[28:31]// 00000000CAE4: D3F3001C 1C72154A
	v_mfma_f32_16x16x32_fp8_fp8 v[28:31], a[76:77], a[12:13], v[28:31]// 00000000CAEC: D3F3001C 1C72194C
	buffer_load_dwordx4 a[48:51], v232, s[12:15], 0 offen offset:3072// 00000000CAF4: E05C1C00 808330E8
	v_mfma_f32_16x16x32_fp8_fp8 v[28:31], a[78:79], a[14:15], v[28:31]// 00000000CAFC: D3F3001C 1C721D4E
	v_mfma_f32_16x16x32_fp8_fp8 v[32:35], a[80:81], a[8:9], 0  // 00000000CB04: D3F30020 1A021150
	v_mfma_f32_16x16x32_fp8_fp8 v[32:35], a[82:83], a[10:11], v[32:35]// 00000000CB0C: D3F30020 1C821552
	v_mfma_f32_16x16x32_fp8_fp8 v[32:35], a[84:85], a[12:13], v[32:35]// 00000000CB14: D3F30020 1C821954
	buffer_load_dwordx4 a[52:55], v233, s[12:15], 0 offen offset:3072// 00000000CB1C: E05C1C00 808334E9
	v_mfma_f32_16x16x32_fp8_fp8 v[32:35], a[86:87], a[14:15], v[32:35]// 00000000CB24: D3F30020 1C821D56
	v_mfma_f32_16x16x32_fp8_fp8 v[36:39], a[56:57], a[16:17], 0// 00000000CB2C: D3F30024 1A022138
	v_mfma_f32_16x16x32_fp8_fp8 v[36:39], a[58:59], a[18:19], v[36:39]// 00000000CB34: D3F30024 1C92253A
	v_mfma_f32_16x16x32_fp8_fp8 v[36:39], a[60:61], a[20:21], v[36:39]// 00000000CB3C: D3F30024 1C92293C
	v_mfma_f32_16x16x32_fp8_fp8 v[36:39], a[62:63], a[22:23], v[36:39]// 00000000CB44: D3F30024 1C922D3E
	v_mfma_f32_16x16x32_fp8_fp8 v[40:43], a[64:65], a[16:17], 0// 00000000CB4C: D3F30028 1A022140
	v_mfma_f32_16x16x32_fp8_fp8 v[40:43], a[66:67], a[18:19], v[40:43]// 00000000CB54: D3F30028 1CA22542
	v_mfma_f32_16x16x32_fp8_fp8 v[40:43], a[68:69], a[20:21], v[40:43]// 00000000CB5C: D3F30028 1CA22944
	v_mfma_f32_16x16x32_fp8_fp8 v[40:43], a[70:71], a[22:23], v[40:43]// 00000000CB64: D3F30028 1CA22D46
	v_mfma_f32_16x16x32_fp8_fp8 v[44:47], a[72:73], a[16:17], 0// 00000000CB6C: D3F3002C 1A022148
	v_mfma_f32_16x16x32_fp8_fp8 v[44:47], a[74:75], a[18:19], v[44:47]// 00000000CB74: D3F3002C 1CB2254A
	v_mfma_f32_16x16x32_fp8_fp8 v[44:47], a[76:77], a[20:21], v[44:47]// 00000000CB7C: D3F3002C 1CB2294C
	v_mfma_f32_16x16x32_fp8_fp8 v[44:47], a[78:79], a[22:23], v[44:47]// 00000000CB84: D3F3002C 1CB22D4E
	v_mfma_f32_16x16x32_fp8_fp8 v[48:51], a[80:81], a[16:17], 0// 00000000CB8C: D3F30030 1A022150
	v_mfma_f32_16x16x32_fp8_fp8 v[48:51], a[82:83], a[18:19], v[48:51]// 00000000CB94: D3F30030 1CC22552
	v_mfma_f32_16x16x32_fp8_fp8 v[48:51], a[84:85], a[20:21], v[48:51]// 00000000CB9C: D3F30030 1CC22954
	v_mfma_f32_16x16x32_fp8_fp8 v[48:51], a[86:87], a[22:23], v[48:51]// 00000000CBA4: D3F30030 1CC22D56
	s_waitcnt vmcnt(16)                                        // 00000000CBAC: BF8C4F70
	v_or_b32_dpp v36, v44, v36 row_shr:8 row_mask:0xf bank_mask:0xf bound_ctrl:1// 00000000CBB0: 284848FA FF09182C
	v_or_b32_dpp v37, v45, v37 row_shr:8 row_mask:0xf bank_mask:0xf bound_ctrl:1// 00000000CBB8: 284A4AFA FF09182D
	v_or_b32_dpp v38, v46, v38 row_shr:8 row_mask:0xf bank_mask:0xf bound_ctrl:1// 00000000CBC0: 284C4CFA FF09182E
	v_or_b32_dpp v39, v47, v39 row_shr:8 row_mask:0xf bank_mask:0xf bound_ctrl:1// 00000000CBC8: 284E4EFA FF09182F
	v_or_b32_dpp v40, v48, v40 row_shr:8 row_mask:0xf bank_mask:0xf bound_ctrl:1// 00000000CBD0: 285050FA FF091830
	v_or_b32_dpp v41, v49, v41 row_shr:8 row_mask:0xf bank_mask:0xf bound_ctrl:1// 00000000CBD8: 285252FA FF091831
	v_or_b32_dpp v42, v50, v42 row_shr:8 row_mask:0xf bank_mask:0xf bound_ctrl:1// 00000000CBE0: 285454FA FF091832
	v_or_b32_dpp v43, v51, v43 row_shr:8 row_mask:0xf bank_mask:0xf bound_ctrl:1// 00000000CBE8: 285656FA FF091833
	v_mov_b32_dpp v168, v155 row_shr:4 row_mask:0xf bank_mask:0xf// 00000000CBF0: 7F5002FA FF01149B
	v_mov_b32_dpp v169, v155 row_shl:4 row_mask:0xf bank_mask:0xf// 00000000CBF8: 7F5202FA FF01049B
	v_cndmask_b32_e64 v164, v155, v168, s[90:91]               // 00000000CC00: D10000A4 016B519B
	v_cndmask_b32_e64 v165, v169, v155, s[90:91]               // 00000000CC08: D10000A5 016B37A9
	v_mov_b32_dpp v168, v157 row_shr:4 row_mask:0xf bank_mask:0xf// 00000000CC10: 7F5002FA FF01149D
	v_mov_b32_dpp v169, v157 row_shl:4 row_mask:0xf bank_mask:0xf// 00000000CC18: 7F5202FA FF01049D
	v_cndmask_b32_e64 v166, v157, v168, s[90:91]               // 00000000CC20: D10000A6 016B519D
	v_cndmask_b32_e64 v167, v169, v157, s[90:91]               // 00000000CC28: D10000A7 016B3BA9
	v_pk_mul_f32 v[4:5], v[148:149], v[4:5]                    // 00000000CC30: D3B14004 18020994
	v_pk_mul_f32 v[6:7], v[148:149], v[6:7]                    // 00000000CC38: D3B14006 18020D94
	v_pk_mul_f32 v[8:9], v[148:149], v[8:9]                    // 00000000CC40: D3B14008 18021194
	v_pk_mul_f32 v[10:11], v[148:149], v[10:11]                // 00000000CC48: D3B1400A 18021594
	v_pk_mul_f32 v[12:13], v[148:149], v[12:13]                // 00000000CC50: D3B1400C 18021994
	v_pk_mul_f32 v[14:15], v[148:149], v[14:15]                // 00000000CC58: D3B1400E 18021D94
	v_pk_mul_f32 v[16:17], v[148:149], v[16:17]                // 00000000CC60: D3B14010 18022194
	v_pk_mul_f32 v[18:19], v[148:149], v[18:19]                // 00000000CC68: D3B14012 18022594
	v_mul_f32_dpp v4, v155, v4 row_newbcast:0 row_mask:0xf bank_mask:0xf// 00000000CC70: 0A0808FA FF01509B
	v_mul_f32_dpp v5, v155, v5 row_newbcast:1 row_mask:0xf bank_mask:0xf// 00000000CC78: 0A0A0AFA FF01519B
	v_mul_f32_dpp v6, v155, v6 row_newbcast:2 row_mask:0xf bank_mask:0xf// 00000000CC80: 0A0C0CFA FF01529B
	v_mul_f32_dpp v7, v155, v7 row_newbcast:3 row_mask:0xf bank_mask:0xf// 00000000CC88: 0A0E0EFA FF01539B
	v_mul_f32_dpp v8, v155, v8 row_newbcast:4 row_mask:0xf bank_mask:0xf// 00000000CC90: 0A1010FA FF01549B
	v_mul_f32_dpp v9, v155, v9 row_newbcast:5 row_mask:0xf bank_mask:0xf// 00000000CC98: 0A1212FA FF01559B
	v_mul_f32_dpp v10, v155, v10 row_newbcast:6 row_mask:0xf bank_mask:0xf// 00000000CCA0: 0A1414FA FF01569B
	v_mul_f32_dpp v11, v155, v11 row_newbcast:7 row_mask:0xf bank_mask:0xf// 00000000CCA8: 0A1616FA FF01579B
	v_mul_f32_dpp v12, v155, v12 row_newbcast:8 row_mask:0xf bank_mask:0xf// 00000000CCB0: 0A1818FA FF01589B
	v_mul_f32_dpp v13, v155, v13 row_newbcast:9 row_mask:0xf bank_mask:0xf// 00000000CCB8: 0A1A1AFA FF01599B
	v_mul_f32_dpp v14, v155, v14 row_newbcast:10 row_mask:0xf bank_mask:0xf// 00000000CCC0: 0A1C1CFA FF015A9B
	v_mul_f32_dpp v15, v155, v15 row_newbcast:11 row_mask:0xf bank_mask:0xf// 00000000CCC8: 0A1E1EFA FF015B9B
	v_mul_f32_dpp v16, v155, v16 row_newbcast:12 row_mask:0xf bank_mask:0xf// 00000000CCD0: 0A2020FA FF015C9B
	v_mul_f32_dpp v17, v155, v17 row_newbcast:13 row_mask:0xf bank_mask:0xf// 00000000CCD8: 0A2222FA FF015D9B
	v_mul_f32_dpp v18, v155, v18 row_newbcast:14 row_mask:0xf bank_mask:0xf// 00000000CCE0: 0A2424FA FF015E9B
	v_mul_f32_dpp v19, v155, v19 row_newbcast:15 row_mask:0xf bank_mask:0xf// 00000000CCE8: 0A2626FA FF015F9B
	v_pk_mul_f32 v[20:21], v[150:151], v[20:21]                // 00000000CCF0: D3B14014 18022996
	v_pk_mul_f32 v[22:23], v[150:151], v[22:23]                // 00000000CCF8: D3B14016 18022D96
	v_pk_mul_f32 v[24:25], v[150:151], v[24:25]                // 00000000CD00: D3B14018 18023196
	v_pk_mul_f32 v[26:27], v[150:151], v[26:27]                // 00000000CD08: D3B1401A 18023596
	v_pk_mul_f32 v[28:29], v[150:151], v[28:29]                // 00000000CD10: D3B1401C 18023996
	v_pk_mul_f32 v[30:31], v[150:151], v[30:31]                // 00000000CD18: D3B1401E 18023D96
	v_pk_mul_f32 v[32:33], v[150:151], v[32:33]                // 00000000CD20: D3B14020 18024196
	v_pk_mul_f32 v[34:35], v[150:151], v[34:35]                // 00000000CD28: D3B14022 18024596
	v_mul_f32_dpp v20, v155, v20 row_newbcast:0 row_mask:0xf bank_mask:0xf// 00000000CD30: 0A2828FA FF01509B
	v_mul_f32_dpp v21, v155, v21 row_newbcast:1 row_mask:0xf bank_mask:0xf// 00000000CD38: 0A2A2AFA FF01519B
	v_mul_f32_dpp v22, v155, v22 row_newbcast:2 row_mask:0xf bank_mask:0xf// 00000000CD40: 0A2C2CFA FF01529B
	v_mul_f32_dpp v23, v155, v23 row_newbcast:3 row_mask:0xf bank_mask:0xf// 00000000CD48: 0A2E2EFA FF01539B
	v_mul_f32_dpp v24, v155, v24 row_newbcast:4 row_mask:0xf bank_mask:0xf// 00000000CD50: 0A3030FA FF01549B
	v_mul_f32_dpp v25, v155, v25 row_newbcast:5 row_mask:0xf bank_mask:0xf// 00000000CD58: 0A3232FA FF01559B
	v_mul_f32_dpp v26, v155, v26 row_newbcast:6 row_mask:0xf bank_mask:0xf// 00000000CD60: 0A3434FA FF01569B
	v_mul_f32_dpp v27, v155, v27 row_newbcast:7 row_mask:0xf bank_mask:0xf// 00000000CD68: 0A3636FA FF01579B
	v_mul_f32_dpp v28, v155, v28 row_newbcast:8 row_mask:0xf bank_mask:0xf// 00000000CD70: 0A3838FA FF01589B
	v_mul_f32_dpp v29, v155, v29 row_newbcast:9 row_mask:0xf bank_mask:0xf// 00000000CD78: 0A3A3AFA FF01599B
	v_mul_f32_dpp v30, v155, v30 row_newbcast:10 row_mask:0xf bank_mask:0xf// 00000000CD80: 0A3C3CFA FF015A9B
	v_mul_f32_dpp v31, v155, v31 row_newbcast:11 row_mask:0xf bank_mask:0xf// 00000000CD88: 0A3E3EFA FF015B9B
	v_mul_f32_dpp v32, v155, v32 row_newbcast:12 row_mask:0xf bank_mask:0xf// 00000000CD90: 0A4040FA FF015C9B
	v_mul_f32_dpp v33, v155, v33 row_newbcast:13 row_mask:0xf bank_mask:0xf// 00000000CD98: 0A4242FA FF015D9B
	v_mul_f32_dpp v34, v155, v34 row_newbcast:14 row_mask:0xf bank_mask:0xf// 00000000CDA0: 0A4444FA FF015E9B
	v_mul_f32_dpp v35, v155, v35 row_newbcast:15 row_mask:0xf bank_mask:0xf// 00000000CDA8: 0A4646FA FF015F9B
	v_pk_mul_f32 v[36:37], v[152:153], v[36:37]                // 00000000CDB0: D3B14024 18024998
	v_pk_mul_f32 v[38:39], v[152:153], v[38:39]                // 00000000CDB8: D3B14026 18024D98
	v_pk_mul_f32 v[40:41], v[152:153], v[40:41]                // 00000000CDC0: D3B14028 18025198
	v_pk_mul_f32 v[42:43], v[152:153], v[42:43]                // 00000000CDC8: D3B1402A 18025598
	v_mul_f32_dpp v36, v164, v36 quad_perm:[0,0,0,0] row_mask:0xf bank_mask:0xf// 00000000CDD0: 0A4848FA FF0000A4
	v_mul_f32_dpp v37, v164, v37 quad_perm:[1,1,1,1] row_mask:0xf bank_mask:0xf// 00000000CDD8: 0A4A4AFA FF0055A4
	v_mul_f32_dpp v38, v164, v38 quad_perm:[2,2,2,2] row_mask:0xf bank_mask:0xf// 00000000CDE0: 0A4C4CFA FF00AAA4
	v_mul_f32_dpp v39, v164, v39 quad_perm:[3,3,3,3] row_mask:0xf bank_mask:0xf// 00000000CDE8: 0A4E4EFA FF00FFA4
	v_mul_f32_dpp v40, v165, v40 quad_perm:[0,0,0,0] row_mask:0xf bank_mask:0xf// 00000000CDF0: 0A5050FA FF0000A5
	v_mul_f32_dpp v41, v165, v41 quad_perm:[1,1,1,1] row_mask:0xf bank_mask:0xf// 00000000CDF8: 0A5252FA FF0055A5
	v_mul_f32_dpp v42, v165, v42 quad_perm:[2,2,2,2] row_mask:0xf bank_mask:0xf// 00000000CE00: 0A5454FA FF00AAA5
	v_mul_f32_dpp v43, v165, v43 quad_perm:[3,3,3,3] row_mask:0xf bank_mask:0xf// 00000000CE08: 0A5656FA FF00FFA5
	v_add_u32_e32 v168, s49, v222                              // 00000000CE10: 6951BC31
	v_add_u32_e32 v169, 0, v168                                // 00000000CE14: 69535080
	v_cmp_lt_u32_e64 s[84:85], v169, v219                      // 00000000CE18: D0C90054 0003B7A9
	s_nop 0                                                    // 00000000CE20: BF800000
	v_cndmask_b32_e64 v4, v225, v4, s[84:85]                   // 00000000CE24: D1000004 015209E1
	v_add_u32_e32 v169, 1, v168                                // 00000000CE2C: 69535081
	v_cmp_lt_u32_e64 s[84:85], v169, v219                      // 00000000CE30: D0C90054 0003B7A9
	s_nop 0                                                    // 00000000CE38: BF800000
	v_cndmask_b32_e64 v5, v225, v5, s[84:85]                   // 00000000CE3C: D1000005 01520BE1
	v_add_u32_e32 v169, 2, v168                                // 00000000CE44: 69535082
	v_cmp_lt_u32_e64 s[84:85], v169, v219                      // 00000000CE48: D0C90054 0003B7A9
	s_nop 0                                                    // 00000000CE50: BF800000
	v_cndmask_b32_e64 v6, v225, v6, s[84:85]                   // 00000000CE54: D1000006 01520DE1
	v_add_u32_e32 v169, 3, v168                                // 00000000CE5C: 69535083
	v_cmp_lt_u32_e64 s[84:85], v169, v219                      // 00000000CE60: D0C90054 0003B7A9
	s_nop 0                                                    // 00000000CE68: BF800000
	v_cndmask_b32_e64 v7, v225, v7, s[84:85]                   // 00000000CE6C: D1000007 01520FE1
	v_add_u32_e32 v169, 64, v168                               // 00000000CE74: 695350C0
	v_cmp_lt_u32_e64 s[84:85], v169, v219                      // 00000000CE78: D0C90054 0003B7A9
	s_nop 0                                                    // 00000000CE80: BF800000
	v_cndmask_b32_e64 v8, v225, v8, s[84:85]                   // 00000000CE84: D1000008 015211E1
	v_add_u32_e32 v169, 0x41, v168                             // 00000000CE8C: 695350FF 00000041
	v_cmp_lt_u32_e64 s[84:85], v169, v219                      // 00000000CE94: D0C90054 0003B7A9
	s_nop 0                                                    // 00000000CE9C: BF800000
	v_cndmask_b32_e64 v9, v225, v9, s[84:85]                   // 00000000CEA0: D1000009 015213E1
	v_add_u32_e32 v169, 0x42, v168                             // 00000000CEA8: 695350FF 00000042
	v_cmp_lt_u32_e64 s[84:85], v169, v219                      // 00000000CEB0: D0C90054 0003B7A9
	s_nop 0                                                    // 00000000CEB8: BF800000
	v_cndmask_b32_e64 v10, v225, v10, s[84:85]                 // 00000000CEBC: D100000A 015215E1
	v_add_u32_e32 v169, 0x43, v168                             // 00000000CEC4: 695350FF 00000043
	v_cmp_lt_u32_e64 s[84:85], v169, v219                      // 00000000CECC: D0C90054 0003B7A9
	s_nop 0                                                    // 00000000CED4: BF800000
	v_cndmask_b32_e64 v11, v225, v11, s[84:85]                 // 00000000CED8: D100000B 015217E1
	v_add_u32_e32 v169, 0x80, v168                             // 00000000CEE0: 695350FF 00000080
	v_cmp_lt_u32_e64 s[84:85], v169, v219                      // 00000000CEE8: D0C90054 0003B7A9
	s_nop 0                                                    // 00000000CEF0: BF800000
	v_cndmask_b32_e64 v12, v225, v12, s[84:85]                 // 00000000CEF4: D100000C 015219E1
	v_add_u32_e32 v169, 0x81, v168                             // 00000000CEFC: 695350FF 00000081
	v_cmp_lt_u32_e64 s[84:85], v169, v219                      // 00000000CF04: D0C90054 0003B7A9
	s_nop 0                                                    // 00000000CF0C: BF800000
	v_cndmask_b32_e64 v13, v225, v13, s[84:85]                 // 00000000CF10: D100000D 01521BE1
	v_add_u32_e32 v169, 0x82, v168                             // 00000000CF18: 695350FF 00000082
	v_cmp_lt_u32_e64 s[84:85], v169, v219                      // 00000000CF20: D0C90054 0003B7A9
	s_nop 0                                                    // 00000000CF28: BF800000
	v_cndmask_b32_e64 v14, v225, v14, s[84:85]                 // 00000000CF2C: D100000E 01521DE1
	v_add_u32_e32 v169, 0x83, v168                             // 00000000CF34: 695350FF 00000083
	v_cmp_lt_u32_e64 s[84:85], v169, v219                      // 00000000CF3C: D0C90054 0003B7A9
	s_nop 0                                                    // 00000000CF44: BF800000
	v_cndmask_b32_e64 v15, v225, v15, s[84:85]                 // 00000000CF48: D100000F 01521FE1
	v_add_u32_e32 v169, 0xc0, v168                             // 00000000CF50: 695350FF 000000C0
	v_cmp_lt_u32_e64 s[84:85], v169, v219                      // 00000000CF58: D0C90054 0003B7A9
	s_nop 0                                                    // 00000000CF60: BF800000
	v_cndmask_b32_e64 v16, v225, v16, s[84:85]                 // 00000000CF64: D1000010 015221E1
	v_add_u32_e32 v169, 0xc1, v168                             // 00000000CF6C: 695350FF 000000C1
	v_cmp_lt_u32_e64 s[84:85], v169, v219                      // 00000000CF74: D0C90054 0003B7A9
	s_nop 0                                                    // 00000000CF7C: BF800000
	v_cndmask_b32_e64 v17, v225, v17, s[84:85]                 // 00000000CF80: D1000011 015223E1
	v_add_u32_e32 v169, 0xc2, v168                             // 00000000CF88: 695350FF 000000C2
	v_cmp_lt_u32_e64 s[84:85], v169, v219                      // 00000000CF90: D0C90054 0003B7A9
	s_nop 0                                                    // 00000000CF98: BF800000
	v_cndmask_b32_e64 v18, v225, v18, s[84:85]                 // 00000000CF9C: D1000012 015225E1
	v_add_u32_e32 v169, 0xc3, v168                             // 00000000CFA4: 695350FF 000000C3
	v_cmp_lt_u32_e64 s[84:85], v169, v219                      // 00000000CFAC: D0C90054 0003B7A9
	s_nop 0                                                    // 00000000CFB4: BF800000
	v_cndmask_b32_e64 v19, v225, v19, s[84:85]                 // 00000000CFB8: D1000013 015227E1
	v_add_u32_e32 v169, 0, v168                                // 00000000CFC0: 69535080
	v_cmp_lt_u32_e64 s[84:85], v169, v220                      // 00000000CFC4: D0C90054 0003B9A9
	s_nop 0                                                    // 00000000CFCC: BF800000
	v_cndmask_b32_e64 v20, v225, v20, s[84:85]                 // 00000000CFD0: D1000014 015229E1
	v_add_u32_e32 v169, 1, v168                                // 00000000CFD8: 69535081
	v_cmp_lt_u32_e64 s[84:85], v169, v220                      // 00000000CFDC: D0C90054 0003B9A9
	s_nop 0                                                    // 00000000CFE4: BF800000
	v_cndmask_b32_e64 v21, v225, v21, s[84:85]                 // 00000000CFE8: D1000015 01522BE1
	v_add_u32_e32 v169, 2, v168                                // 00000000CFF0: 69535082
	v_cmp_lt_u32_e64 s[84:85], v169, v220                      // 00000000CFF4: D0C90054 0003B9A9
	s_nop 0                                                    // 00000000CFFC: BF800000
	v_cndmask_b32_e64 v22, v225, v22, s[84:85]                 // 00000000D000: D1000016 01522DE1
	v_add_u32_e32 v169, 3, v168                                // 00000000D008: 69535083
	v_cmp_lt_u32_e64 s[84:85], v169, v220                      // 00000000D00C: D0C90054 0003B9A9
	s_nop 0                                                    // 00000000D014: BF800000
	v_cndmask_b32_e64 v23, v225, v23, s[84:85]                 // 00000000D018: D1000017 01522FE1
	v_add_u32_e32 v169, 64, v168                               // 00000000D020: 695350C0
	v_cmp_lt_u32_e64 s[84:85], v169, v220                      // 00000000D024: D0C90054 0003B9A9
	s_nop 0                                                    // 00000000D02C: BF800000
	v_cndmask_b32_e64 v24, v225, v24, s[84:85]                 // 00000000D030: D1000018 015231E1
	v_add_u32_e32 v169, 0x41, v168                             // 00000000D038: 695350FF 00000041
	v_cmp_lt_u32_e64 s[84:85], v169, v220                      // 00000000D040: D0C90054 0003B9A9
	s_nop 0                                                    // 00000000D048: BF800000
	v_cndmask_b32_e64 v25, v225, v25, s[84:85]                 // 00000000D04C: D1000019 015233E1
	v_add_u32_e32 v169, 0x42, v168                             // 00000000D054: 695350FF 00000042
	v_cmp_lt_u32_e64 s[84:85], v169, v220                      // 00000000D05C: D0C90054 0003B9A9
	s_nop 0                                                    // 00000000D064: BF800000
	v_cndmask_b32_e64 v26, v225, v26, s[84:85]                 // 00000000D068: D100001A 015235E1
	v_add_u32_e32 v169, 0x43, v168                             // 00000000D070: 695350FF 00000043
	v_cmp_lt_u32_e64 s[84:85], v169, v220                      // 00000000D078: D0C90054 0003B9A9
	s_nop 0                                                    // 00000000D080: BF800000
	v_cndmask_b32_e64 v27, v225, v27, s[84:85]                 // 00000000D084: D100001B 015237E1
	v_add_u32_e32 v169, 0x80, v168                             // 00000000D08C: 695350FF 00000080
	v_cmp_lt_u32_e64 s[84:85], v169, v220                      // 00000000D094: D0C90054 0003B9A9
	s_nop 0                                                    // 00000000D09C: BF800000
	v_cndmask_b32_e64 v28, v225, v28, s[84:85]                 // 00000000D0A0: D100001C 015239E1
	v_add_u32_e32 v169, 0x81, v168                             // 00000000D0A8: 695350FF 00000081
	v_cmp_lt_u32_e64 s[84:85], v169, v220                      // 00000000D0B0: D0C90054 0003B9A9
	s_nop 0                                                    // 00000000D0B8: BF800000
	v_cndmask_b32_e64 v29, v225, v29, s[84:85]                 // 00000000D0BC: D100001D 01523BE1
	v_add_u32_e32 v169, 0x82, v168                             // 00000000D0C4: 695350FF 00000082
	v_cmp_lt_u32_e64 s[84:85], v169, v220                      // 00000000D0CC: D0C90054 0003B9A9
	s_nop 0                                                    // 00000000D0D4: BF800000
	v_cndmask_b32_e64 v30, v225, v30, s[84:85]                 // 00000000D0D8: D100001E 01523DE1
	v_add_u32_e32 v169, 0x83, v168                             // 00000000D0E0: 695350FF 00000083
	v_cmp_lt_u32_e64 s[84:85], v169, v220                      // 00000000D0E8: D0C90054 0003B9A9
	s_nop 0                                                    // 00000000D0F0: BF800000
	v_cndmask_b32_e64 v31, v225, v31, s[84:85]                 // 00000000D0F4: D100001F 01523FE1
	v_add_u32_e32 v169, 0xc0, v168                             // 00000000D0FC: 695350FF 000000C0
	v_cmp_lt_u32_e64 s[84:85], v169, v220                      // 00000000D104: D0C90054 0003B9A9
	s_nop 0                                                    // 00000000D10C: BF800000
	v_cndmask_b32_e64 v32, v225, v32, s[84:85]                 // 00000000D110: D1000020 015241E1
	v_add_u32_e32 v169, 0xc1, v168                             // 00000000D118: 695350FF 000000C1
	v_cmp_lt_u32_e64 s[84:85], v169, v220                      // 00000000D120: D0C90054 0003B9A9
	s_nop 0                                                    // 00000000D128: BF800000
	v_cndmask_b32_e64 v33, v225, v33, s[84:85]                 // 00000000D12C: D1000021 015243E1
	v_add_u32_e32 v169, 0xc2, v168                             // 00000000D134: 695350FF 000000C2
	v_cmp_lt_u32_e64 s[84:85], v169, v220                      // 00000000D13C: D0C90054 0003B9A9
	s_nop 0                                                    // 00000000D144: BF800000
	v_cndmask_b32_e64 v34, v225, v34, s[84:85]                 // 00000000D148: D1000022 015245E1
	v_add_u32_e32 v169, 0xc3, v168                             // 00000000D150: 695350FF 000000C3
	v_cmp_lt_u32_e64 s[84:85], v169, v220                      // 00000000D158: D0C90054 0003B9A9
	s_nop 0                                                    // 00000000D160: BF800000
	v_cndmask_b32_e64 v35, v225, v35, s[84:85]                 // 00000000D164: D1000023 015247E1
	v_add_u32_e32 v168, s49, v223                              // 00000000D16C: 6951BE31
	v_add_u32_e32 v169, 0, v168                                // 00000000D170: 69535080
	v_cmp_lt_u32_e64 s[84:85], v169, v221                      // 00000000D174: D0C90054 0003BBA9
	s_nop 0                                                    // 00000000D17C: BF800000
	v_cndmask_b32_e64 v36, v225, v36, s[84:85]                 // 00000000D180: D1000024 015249E1
	v_add_u32_e32 v169, 1, v168                                // 00000000D188: 69535081
	v_cmp_lt_u32_e64 s[84:85], v169, v221                      // 00000000D18C: D0C90054 0003BBA9
	s_nop 0                                                    // 00000000D194: BF800000
	v_cndmask_b32_e64 v37, v225, v37, s[84:85]                 // 00000000D198: D1000025 01524BE1
	v_add_u32_e32 v169, 2, v168                                // 00000000D1A0: 69535082
	v_cmp_lt_u32_e64 s[84:85], v169, v221                      // 00000000D1A4: D0C90054 0003BBA9
	s_nop 0                                                    // 00000000D1AC: BF800000
	v_cndmask_b32_e64 v38, v225, v38, s[84:85]                 // 00000000D1B0: D1000026 01524DE1
	v_add_u32_e32 v169, 3, v168                                // 00000000D1B8: 69535083
	v_cmp_lt_u32_e64 s[84:85], v169, v221                      // 00000000D1BC: D0C90054 0003BBA9
	s_nop 0                                                    // 00000000D1C4: BF800000
	v_cndmask_b32_e64 v39, v225, v39, s[84:85]                 // 00000000D1C8: D1000027 01524FE1
	v_add_u32_e32 v169, 64, v168                               // 00000000D1D0: 695350C0
	v_cmp_lt_u32_e64 s[84:85], v169, v221                      // 00000000D1D4: D0C90054 0003BBA9
	s_nop 0                                                    // 00000000D1DC: BF800000
	v_cndmask_b32_e64 v40, v225, v40, s[84:85]                 // 00000000D1E0: D1000028 015251E1
	v_add_u32_e32 v169, 0x41, v168                             // 00000000D1E8: 695350FF 00000041
	v_cmp_lt_u32_e64 s[84:85], v169, v221                      // 00000000D1F0: D0C90054 0003BBA9
	s_nop 0                                                    // 00000000D1F8: BF800000
	v_cndmask_b32_e64 v41, v225, v41, s[84:85]                 // 00000000D1FC: D1000029 015253E1
	v_add_u32_e32 v169, 0x42, v168                             // 00000000D204: 695350FF 00000042
	v_cmp_lt_u32_e64 s[84:85], v169, v221                      // 00000000D20C: D0C90054 0003BBA9
	s_nop 0                                                    // 00000000D214: BF800000
	v_cndmask_b32_e64 v42, v225, v42, s[84:85]                 // 00000000D218: D100002A 015255E1
	v_add_u32_e32 v169, 0x43, v168                             // 00000000D220: 695350FF 00000043
	v_cmp_lt_u32_e64 s[84:85], v169, v221                      // 00000000D228: D0C90054 0003BBA9
	s_nop 0                                                    // 00000000D230: BF800000
	v_cndmask_b32_e64 v43, v225, v43, s[84:85]                 // 00000000D234: D100002B 015257E1
	v_mov_b32_e32 v190, v36                                    // 00000000D23C: 7F7C0324
	v_max3_f32 v190, v36, v37, v190                            // 00000000D240: D1D300BE 06FA4B24
	v_max3_f32 v190, v38, v39, v190                            // 00000000D248: D1D300BE 06FA4F26
	v_max3_f32 v190, v40, v41, v190                            // 00000000D250: D1D300BE 06FA5328
	v_max3_f32 v190, v42, v43, v190                            // 00000000D258: D1D300BE 06FA572A
	v_mov_b32_e32 v189, v20                                    // 00000000D260: 7F7A0314
	v_max3_f32 v189, v20, v21, v189                            // 00000000D264: D1D300BD 06F62B14
	v_max3_f32 v189, v22, v23, v189                            // 00000000D26C: D1D300BD 06F62F16
	v_max3_f32 v189, v24, v25, v189                            // 00000000D274: D1D300BD 06F63318
	v_max3_f32 v189, v26, v27, v189                            // 00000000D27C: D1D300BD 06F6371A
	v_max3_f32 v189, v28, v29, v189                            // 00000000D284: D1D300BD 06F63B1C
	v_max3_f32 v189, v30, v31, v189                            // 00000000D28C: D1D300BD 06F63F1E
	v_max3_f32 v189, v32, v33, v189                            // 00000000D294: D1D300BD 06F64320
	v_max3_f32 v189, v34, v35, v189                            // 00000000D29C: D1D300BD 06F64722
	v_mov_b32_e32 v188, v4                                     // 00000000D2A4: 7F780304
	v_max3_f32 v188, v4, v5, v188                              // 00000000D2A8: D1D300BC 06F20B04
	v_max3_f32 v188, v6, v7, v188                              // 00000000D2B0: D1D300BC 06F20F06
	v_max3_f32 v188, v8, v9, v188                              // 00000000D2B8: D1D300BC 06F21308
	v_max3_f32 v188, v10, v11, v188                            // 00000000D2C0: D1D300BC 06F2170A
	v_max3_f32 v188, v12, v13, v188                            // 00000000D2C8: D1D300BC 06F21B0C
	v_max3_f32 v188, v14, v15, v188                            // 00000000D2D0: D1D300BC 06F21F0E
	v_max3_f32 v188, v16, v17, v188                            // 00000000D2D8: D1D300BC 06F22310
	v_max3_f32 v188, v18, v19, v188                            // 00000000D2E0: D1D300BC 06F22712
	v_max_f32_dpp v190, v190, v190 row_ror:8 row_mask:0xf bank_mask:0xf// 00000000D2E8: 177D7CFA FF0128BE
	ds_bpermute_b32 v172, v212, v188                           // 00000000D2F0: D87E0000 AC00BCD4
	ds_bpermute_b32 v173, v213, v188                           // 00000000D2F8: D87E0000 AD00BCD5
	ds_bpermute_b32 v174, v214, v188                           // 00000000D300: D87E0000 AE00BCD6
	ds_bpermute_b32 v175, v212, v189                           // 00000000D308: D87E0000 AF00BDD4
	ds_bpermute_b32 v176, v213, v189                           // 00000000D310: D87E0000 B000BDD5
	ds_bpermute_b32 v177, v214, v189                           // 00000000D318: D87E0000 B100BDD6
	ds_bpermute_b32 v178, v212, v190                           // 00000000D320: D87E0000 B200BED4
	ds_bpermute_b32 v179, v213, v190                           // 00000000D328: D87E0000 B300BED5
	ds_bpermute_b32 v180, v214, v190                           // 00000000D330: D87E0000 B400BED6
	v_pk_mul_f32 v[124:125], v[200:201], v[124:125]            // 00000000D338: D3B1407C 1802F9C8
	v_pk_mul_f32 v[126:127], v[200:201], v[126:127]            // 00000000D340: D3B1407E 1802FDC8
	v_pk_mul_f32 v[128:129], v[200:201], v[128:129]            // 00000000D348: D3B14080 180301C8
	v_pk_mul_f32 v[130:131], v[200:201], v[130:131]            // 00000000D350: D3B14082 180305C8
	v_pk_mul_f32 v[132:133], v[202:203], v[132:133]            // 00000000D358: D3B14084 180309CA
	v_pk_mul_f32 v[134:135], v[202:203], v[134:135]            // 00000000D360: D3B14086 18030DCA
	v_pk_mul_f32 v[136:137], v[202:203], v[136:137]            // 00000000D368: D3B14088 180311CA
	v_pk_mul_f32 v[138:139], v[202:203], v[138:139]            // 00000000D370: D3B1408A 180315CA
	v_pk_mul_f32 v[140:141], v[204:205], v[140:141]            // 00000000D378: D3B1408C 180319CC
	v_pk_mul_f32 v[142:143], v[204:205], v[142:143]            // 00000000D380: D3B1408E 18031DCC
	v_pk_mul_f32 v[144:145], v[204:205], v[144:145]            // 00000000D388: D3B14090 180321CC
	v_pk_mul_f32 v[146:147], v[204:205], v[146:147]            // 00000000D390: D3B14092 180325CC
	s_waitcnt lgkmcnt(6)                                       // 00000000D398: BF8CC67F
	v_max3_f32 v188, v172, v173, v188                          // 00000000D39C: D1D300BC 06F35BAC
	v_max_f32_e32 v188, v174, v188                             // 00000000D3A4: 177979AE
	s_waitcnt lgkmcnt(3)                                       // 00000000D3A8: BF8CC37F
	v_max3_f32 v189, v175, v176, v189                          // 00000000D3AC: D1D300BD 06F761AF
	v_max_f32_e32 v189, v177, v189                             // 00000000D3B4: 177B7BB1
	s_waitcnt lgkmcnt(0)                                       // 00000000D3B8: BF8CC07F
	v_max3_f32 v190, v178, v179, v190                          // 00000000D3BC: D1D300BE 06FB67B2
	v_max_f32_e32 v190, v180, v190                             // 00000000D3C4: 177D7DB4
	ds_write_b128 v246, v[188:191]                             // 00000000D3C8: D9BE0000 0000BCF6
	s_waitcnt lgkmcnt(0)                                       // 00000000D3D0: BF8CC07F
	s_barrier                                                  // 00000000D3D4: BF8A0000
	ds_read_b128 v[172:175], v247                              // 00000000D3D8: D9FE0000 AC0000F7
	ds_read_b128 v[176:179], v247 offset:256                   // 00000000D3E0: D9FE0100 B00000F7
	ds_read_b128 v[180:183], v247 offset:512                   // 00000000D3E8: D9FE0200 B40000F7
	ds_read_b128 v[184:187], v247 offset:768                   // 00000000D3F0: D9FE0300 B80000F7
	v_pk_mul_f32 v[100:101], v[158:159], v[100:101]            // 00000000D3F8: D3B14064 1802C99E
	v_pk_mul_f32 v[102:103], v[158:159], v[102:103]            // 00000000D400: D3B14066 1802CD9E
	v_pk_mul_f32 v[104:105], v[158:159], v[104:105]            // 00000000D408: D3B14068 1802D19E
	v_pk_mul_f32 v[106:107], v[158:159], v[106:107]            // 00000000D410: D3B1406A 1802D59E
	v_pk_mul_f32 v[108:109], v[160:161], v[108:109]            // 00000000D418: D3B1406C 1802D9A0
	v_pk_mul_f32 v[110:111], v[160:161], v[110:111]            // 00000000D420: D3B1406E 1802DDA0
	v_pk_mul_f32 v[112:113], v[160:161], v[112:113]            // 00000000D428: D3B14070 1802E1A0
	v_pk_mul_f32 v[114:115], v[160:161], v[114:115]            // 00000000D430: D3B14072 1802E5A0
	v_pk_mul_f32 v[116:117], v[162:163], v[116:117]            // 00000000D438: D3B14074 1802E9A2
	v_pk_mul_f32 v[118:119], v[162:163], v[118:119]            // 00000000D440: D3B14076 1802EDA2
	v_pk_mul_f32 v[120:121], v[162:163], v[120:121]            // 00000000D448: D3B14078 1802F1A2
	v_pk_mul_f32 v[122:123], v[162:163], v[122:123]            // 00000000D450: D3B1407A 1802F5A2
	s_waitcnt lgkmcnt(0)                                       // 00000000D458: BF8CC07F
	v_max3_f32 v188, v172, v176, v188                          // 00000000D45C: D1D300BC 06F361AC
	v_max3_f32 v189, v173, v177, v189                          // 00000000D464: D1D300BD 06F763AD
	v_max3_f32 v190, v174, v178, v190                          // 00000000D46C: D1D300BE 06FB65AE
	v_max3_f32 v188, v180, v184, v188                          // 00000000D474: D1D300BC 06F371B4
	v_max3_f32 v189, v181, v185, v189                          // 00000000D47C: D1D300BD 06F773B5
	v_max3_f32 v190, v182, v186, v190                          // 00000000D484: D1D300BE 06FB75B6
	v_max_f32_e32 v197, v188, v194                             // 00000000D48C: 178B85BC
	v_mul_f32_e64 v168, -s51, v197                             // 00000000D490: D10500A8 20038A33
	v_mov_b32_e32 v169, v168                                   // 00000000D498: 7F5203A8
	v_pk_fma_f32 v[4:5], v[4:5], s[86:87], v[168:169]          // 00000000D49C: D3B04004 1EA0AD04
	v_pk_fma_f32 v[6:7], v[6:7], s[86:87], v[168:169]          // 00000000D4A4: D3B04006 1EA0AD06
	v_exp_f32_e32 v4, v4                                       // 00000000D4AC: 7E084104
	v_exp_f32_e32 v5, v5                                       // 00000000D4B0: 7E0A4105
	v_exp_f32_e32 v6, v6                                       // 00000000D4B4: 7E0C4106
	v_exp_f32_e32 v7, v7                                       // 00000000D4B8: 7E0E4107
	v_pk_fma_f32 v[8:9], v[8:9], s[86:87], v[168:169]          // 00000000D4BC: D3B04008 1EA0AD08
	v_pk_fma_f32 v[10:11], v[10:11], s[86:87], v[168:169]      // 00000000D4C4: D3B0400A 1EA0AD0A
	v_exp_f32_e32 v8, v8                                       // 00000000D4CC: 7E104108
	v_exp_f32_e32 v9, v9                                       // 00000000D4D0: 7E124109
	v_exp_f32_e32 v10, v10                                     // 00000000D4D4: 7E14410A
	v_exp_f32_e32 v11, v11                                     // 00000000D4D8: 7E16410B
	v_pk_fma_f32 v[12:13], v[12:13], s[86:87], v[168:169]      // 00000000D4DC: D3B0400C 1EA0AD0C
	v_pk_fma_f32 v[14:15], v[14:15], s[86:87], v[168:169]      // 00000000D4E4: D3B0400E 1EA0AD0E
	v_exp_f32_e32 v12, v12                                     // 00000000D4EC: 7E18410C
	v_exp_f32_e32 v13, v13                                     // 00000000D4F0: 7E1A410D
	v_exp_f32_e32 v14, v14                                     // 00000000D4F4: 7E1C410E
	v_exp_f32_e32 v15, v15                                     // 00000000D4F8: 7E1E410F
	v_pk_fma_f32 v[16:17], v[16:17], s[86:87], v[168:169]      // 00000000D4FC: D3B04010 1EA0AD10
	v_pk_fma_f32 v[18:19], v[18:19], s[86:87], v[168:169]      // 00000000D504: D3B04012 1EA0AD12
	v_exp_f32_e32 v16, v16                                     // 00000000D50C: 7E204110
	v_exp_f32_e32 v17, v17                                     // 00000000D510: 7E224111
	v_exp_f32_e32 v18, v18                                     // 00000000D514: 7E244112
	v_exp_f32_e32 v19, v19                                     // 00000000D518: 7E264113
	v_max_f32_e32 v198, v189, v195                             // 00000000D51C: 178D87BD
	v_mul_f32_e64 v168, -s51, v198                             // 00000000D520: D10500A8 20038C33
	v_mov_b32_e32 v169, v168                                   // 00000000D528: 7F5203A8
	v_pk_fma_f32 v[20:21], v[20:21], s[86:87], v[168:169]      // 00000000D52C: D3B04014 1EA0AD14
	v_pk_fma_f32 v[22:23], v[22:23], s[86:87], v[168:169]      // 00000000D534: D3B04016 1EA0AD16
	v_exp_f32_e32 v20, v20                                     // 00000000D53C: 7E284114
	v_exp_f32_e32 v21, v21                                     // 00000000D540: 7E2A4115
	v_exp_f32_e32 v22, v22                                     // 00000000D544: 7E2C4116
	v_exp_f32_e32 v23, v23                                     // 00000000D548: 7E2E4117
	v_pk_fma_f32 v[24:25], v[24:25], s[86:87], v[168:169]      // 00000000D54C: D3B04018 1EA0AD18
	v_pk_fma_f32 v[26:27], v[26:27], s[86:87], v[168:169]      // 00000000D554: D3B0401A 1EA0AD1A
	v_exp_f32_e32 v24, v24                                     // 00000000D55C: 7E304118
	v_exp_f32_e32 v25, v25                                     // 00000000D560: 7E324119
	v_exp_f32_e32 v26, v26                                     // 00000000D564: 7E34411A
	v_exp_f32_e32 v27, v27                                     // 00000000D568: 7E36411B
	v_pk_fma_f32 v[28:29], v[28:29], s[86:87], v[168:169]      // 00000000D56C: D3B0401C 1EA0AD1C
	v_pk_fma_f32 v[30:31], v[30:31], s[86:87], v[168:169]      // 00000000D574: D3B0401E 1EA0AD1E
	v_exp_f32_e32 v28, v28                                     // 00000000D57C: 7E38411C
	v_exp_f32_e32 v29, v29                                     // 00000000D580: 7E3A411D
	v_exp_f32_e32 v30, v30                                     // 00000000D584: 7E3C411E
	v_exp_f32_e32 v31, v31                                     // 00000000D588: 7E3E411F
	v_pk_fma_f32 v[32:33], v[32:33], s[86:87], v[168:169]      // 00000000D58C: D3B04020 1EA0AD20
	v_pk_fma_f32 v[34:35], v[34:35], s[86:87], v[168:169]      // 00000000D594: D3B04022 1EA0AD22
	v_exp_f32_e32 v32, v32                                     // 00000000D59C: 7E404120
	v_exp_f32_e32 v33, v33                                     // 00000000D5A0: 7E424121
	v_exp_f32_e32 v34, v34                                     // 00000000D5A4: 7E444122
	v_exp_f32_e32 v35, v35                                     // 00000000D5A8: 7E464123
	v_max_f32_e32 v199, v190, v196                             // 00000000D5AC: 178F89BE
	v_mul_f32_e64 v168, -s51, v199                             // 00000000D5B0: D10500A8 20038E33
	v_mov_b32_e32 v169, v168                                   // 00000000D5B8: 7F5203A8
	v_pk_fma_f32 v[36:37], v[36:37], s[86:87], v[168:169]      // 00000000D5BC: D3B04024 1EA0AD24
	v_pk_fma_f32 v[38:39], v[38:39], s[86:87], v[168:169]      // 00000000D5C4: D3B04026 1EA0AD26
	v_exp_f32_e32 v36, v36                                     // 00000000D5CC: 7E484124
	v_exp_f32_e32 v37, v37                                     // 00000000D5D0: 7E4A4125
	v_exp_f32_e32 v38, v38                                     // 00000000D5D4: 7E4C4126
	v_exp_f32_e32 v39, v39                                     // 00000000D5D8: 7E4E4127
	v_pk_fma_f32 v[40:41], v[40:41], s[86:87], v[168:169]      // 00000000D5DC: D3B04028 1EA0AD28
	v_pk_fma_f32 v[42:43], v[42:43], s[86:87], v[168:169]      // 00000000D5E4: D3B0402A 1EA0AD2A
	v_exp_f32_e32 v40, v40                                     // 00000000D5EC: 7E504128
	v_exp_f32_e32 v41, v41                                     // 00000000D5F0: 7E524129
	v_exp_f32_e32 v42, v42                                     // 00000000D5F4: 7E54412A
	v_exp_f32_e32 v43, v43                                     // 00000000D5F8: 7E56412B
	v_mul_f32_dpp v52, v157, v4 row_newbcast:0 row_mask:0xf bank_mask:0xf// 00000000D5FC: 0A6808FA FF01509D
	v_mul_f32_dpp v53, v157, v5 row_newbcast:1 row_mask:0xf bank_mask:0xf// 00000000D604: 0A6A0AFA FF01519D
	v_mul_f32_dpp v54, v157, v6 row_newbcast:2 row_mask:0xf bank_mask:0xf// 00000000D60C: 0A6C0CFA FF01529D
	v_mul_f32_dpp v55, v157, v7 row_newbcast:3 row_mask:0xf bank_mask:0xf// 00000000D614: 0A6E0EFA FF01539D
	v_mul_f32_dpp v56, v157, v8 row_newbcast:4 row_mask:0xf bank_mask:0xf// 00000000D61C: 0A7010FA FF01549D
	v_mul_f32_dpp v57, v157, v9 row_newbcast:5 row_mask:0xf bank_mask:0xf// 00000000D624: 0A7212FA FF01559D
	v_mul_f32_dpp v58, v157, v10 row_newbcast:6 row_mask:0xf bank_mask:0xf// 00000000D62C: 0A7414FA FF01569D
	v_mul_f32_dpp v59, v157, v11 row_newbcast:7 row_mask:0xf bank_mask:0xf// 00000000D634: 0A7616FA FF01579D
	v_mul_f32_dpp v60, v157, v12 row_newbcast:8 row_mask:0xf bank_mask:0xf// 00000000D63C: 0A7818FA FF01589D
	v_mul_f32_dpp v61, v157, v13 row_newbcast:9 row_mask:0xf bank_mask:0xf// 00000000D644: 0A7A1AFA FF01599D
	v_mul_f32_dpp v62, v157, v14 row_newbcast:10 row_mask:0xf bank_mask:0xf// 00000000D64C: 0A7C1CFA FF015A9D
	v_mul_f32_dpp v63, v157, v15 row_newbcast:11 row_mask:0xf bank_mask:0xf// 00000000D654: 0A7E1EFA FF015B9D
	v_mul_f32_dpp v64, v157, v16 row_newbcast:12 row_mask:0xf bank_mask:0xf// 00000000D65C: 0A8020FA FF015C9D
	v_mul_f32_dpp v65, v157, v17 row_newbcast:13 row_mask:0xf bank_mask:0xf// 00000000D664: 0A8222FA FF015D9D
	v_mul_f32_dpp v66, v157, v18 row_newbcast:14 row_mask:0xf bank_mask:0xf// 00000000D66C: 0A8424FA FF015E9D
	v_mul_f32_dpp v67, v157, v19 row_newbcast:15 row_mask:0xf bank_mask:0xf// 00000000D674: 0A8626FA FF015F9D
	v_mul_f32_dpp v68, v157, v20 row_newbcast:0 row_mask:0xf bank_mask:0xf// 00000000D67C: 0A8828FA FF01509D
	v_mul_f32_dpp v69, v157, v21 row_newbcast:1 row_mask:0xf bank_mask:0xf// 00000000D684: 0A8A2AFA FF01519D
	v_mul_f32_dpp v70, v157, v22 row_newbcast:2 row_mask:0xf bank_mask:0xf// 00000000D68C: 0A8C2CFA FF01529D
	v_mul_f32_dpp v71, v157, v23 row_newbcast:3 row_mask:0xf bank_mask:0xf// 00000000D694: 0A8E2EFA FF01539D
	v_mul_f32_dpp v72, v157, v24 row_newbcast:4 row_mask:0xf bank_mask:0xf// 00000000D69C: 0A9030FA FF01549D
	v_mul_f32_dpp v73, v157, v25 row_newbcast:5 row_mask:0xf bank_mask:0xf// 00000000D6A4: 0A9232FA FF01559D
	v_mul_f32_dpp v74, v157, v26 row_newbcast:6 row_mask:0xf bank_mask:0xf// 00000000D6AC: 0A9434FA FF01569D
	v_mul_f32_dpp v75, v157, v27 row_newbcast:7 row_mask:0xf bank_mask:0xf// 00000000D6B4: 0A9636FA FF01579D
	v_mul_f32_dpp v76, v157, v28 row_newbcast:8 row_mask:0xf bank_mask:0xf// 00000000D6BC: 0A9838FA FF01589D
	v_mul_f32_dpp v77, v157, v29 row_newbcast:9 row_mask:0xf bank_mask:0xf// 00000000D6C4: 0A9A3AFA FF01599D
	v_mul_f32_dpp v78, v157, v30 row_newbcast:10 row_mask:0xf bank_mask:0xf// 00000000D6CC: 0A9C3CFA FF015A9D
	v_mul_f32_dpp v79, v157, v31 row_newbcast:11 row_mask:0xf bank_mask:0xf// 00000000D6D4: 0A9E3EFA FF015B9D
	v_mul_f32_dpp v80, v157, v32 row_newbcast:12 row_mask:0xf bank_mask:0xf// 00000000D6DC: 0AA040FA FF015C9D
	v_mul_f32_dpp v81, v157, v33 row_newbcast:13 row_mask:0xf bank_mask:0xf// 00000000D6E4: 0AA242FA FF015D9D
	v_mul_f32_dpp v82, v157, v34 row_newbcast:14 row_mask:0xf bank_mask:0xf// 00000000D6EC: 0AA444FA FF015E9D
	v_mul_f32_dpp v83, v157, v35 row_newbcast:15 row_mask:0xf bank_mask:0xf// 00000000D6F4: 0AA646FA FF015F9D
	v_mul_f32_dpp v84, v166, v36 quad_perm:[0,0,0,0] row_mask:0xf bank_mask:0xf// 00000000D6FC: 0AA848FA FF0000A6
	v_mul_f32_dpp v85, v166, v37 quad_perm:[1,1,1,1] row_mask:0xf bank_mask:0xf// 00000000D704: 0AAA4AFA FF0055A6
	v_mul_f32_dpp v86, v166, v38 quad_perm:[2,2,2,2] row_mask:0xf bank_mask:0xf// 00000000D70C: 0AAC4CFA FF00AAA6
	v_mul_f32_dpp v87, v166, v39 quad_perm:[3,3,3,3] row_mask:0xf bank_mask:0xf// 00000000D714: 0AAE4EFA FF00FFA6
	v_mul_f32_dpp v88, v167, v40 quad_perm:[0,0,0,0] row_mask:0xf bank_mask:0xf// 00000000D71C: 0AB050FA FF0000A7
	v_mul_f32_dpp v89, v167, v41 quad_perm:[1,1,1,1] row_mask:0xf bank_mask:0xf// 00000000D724: 0AB252FA FF0055A7
	v_mul_f32_dpp v90, v167, v42 quad_perm:[2,2,2,2] row_mask:0xf bank_mask:0xf// 00000000D72C: 0AB454FA FF00AAA7
	v_mul_f32_dpp v91, v167, v43 quad_perm:[3,3,3,3] row_mask:0xf bank_mask:0xf// 00000000D734: 0AB656FA FF00FFA7
	v_mov_b32_e32 v190, 0x358637bd                             // 00000000D73C: 7F7C02FF 358637BD
	v_max3_f32 v190, |v84|, |v85|, v190                        // 00000000D744: D1D303BE 06FAAB54
	v_max3_f32 v190, |v86|, |v87|, v190                        // 00000000D74C: D1D303BE 06FAAF56
	v_max3_f32 v190, |v88|, |v89|, v190                        // 00000000D754: D1D303BE 06FAB358
	v_max3_f32 v190, |v90|, |v91|, v190                        // 00000000D75C: D1D303BE 06FAB75A
	v_mov_b32_e32 v189, 0x358637bd                             // 00000000D764: 7F7A02FF 358637BD
	v_max3_f32 v189, |v68|, |v69|, v189                        // 00000000D76C: D1D303BD 06F68B44
	v_max3_f32 v189, |v70|, |v71|, v189                        // 00000000D774: D1D303BD 06F68F46
	v_max3_f32 v189, |v72|, |v73|, v189                        // 00000000D77C: D1D303BD 06F69348
	v_max3_f32 v189, |v74|, |v75|, v189                        // 00000000D784: D1D303BD 06F6974A
	v_max3_f32 v189, |v76|, |v77|, v189                        // 00000000D78C: D1D303BD 06F69B4C
	v_max3_f32 v189, |v78|, |v79|, v189                        // 00000000D794: D1D303BD 06F69F4E
	v_max3_f32 v189, |v80|, |v81|, v189                        // 00000000D79C: D1D303BD 06F6A350
	v_max3_f32 v189, |v82|, |v83|, v189                        // 00000000D7A4: D1D303BD 06F6A752
	v_mov_b32_e32 v188, 0x358637bd                             // 00000000D7AC: 7F7802FF 358637BD
	v_max3_f32 v188, |v52|, |v53|, v188                        // 00000000D7B4: D1D303BC 06F26B34
	v_max3_f32 v188, |v54|, |v55|, v188                        // 00000000D7BC: D1D303BC 06F26F36
	v_max3_f32 v188, |v56|, |v57|, v188                        // 00000000D7C4: D1D303BC 06F27338
	v_max3_f32 v188, |v58|, |v59|, v188                        // 00000000D7CC: D1D303BC 06F2773A
	v_max3_f32 v188, |v60|, |v61|, v188                        // 00000000D7D4: D1D303BC 06F27B3C
	v_max3_f32 v188, |v62|, |v63|, v188                        // 00000000D7DC: D1D303BC 06F27F3E
	v_max3_f32 v188, |v64|, |v65|, v188                        // 00000000D7E4: D1D303BC 06F28340
	v_max3_f32 v188, |v66|, |v67|, v188                        // 00000000D7EC: D1D303BC 06F28742
	v_max_f32_dpp v190, v190, v190 row_ror:8 row_mask:0xf bank_mask:0xf// 00000000D7F4: 177D7CFA FF0128BE
	ds_bpermute_b32 v172, v212, v188                           // 00000000D7FC: D87E0000 AC00BCD4
	ds_bpermute_b32 v173, v213, v188                           // 00000000D804: D87E0000 AD00BCD5
	ds_bpermute_b32 v174, v214, v188                           // 00000000D80C: D87E0000 AE00BCD6
	ds_bpermute_b32 v175, v212, v189                           // 00000000D814: D87E0000 AF00BDD4
	ds_bpermute_b32 v176, v213, v189                           // 00000000D81C: D87E0000 B000BDD5
	ds_bpermute_b32 v177, v214, v189                           // 00000000D824: D87E0000 B100BDD6
	ds_bpermute_b32 v178, v212, v190                           // 00000000D82C: D87E0000 B200BED4
	ds_bpermute_b32 v179, v213, v190                           // 00000000D834: D87E0000 B300BED5
	ds_bpermute_b32 v180, v214, v190                           // 00000000D83C: D87E0000 B400BED6
	s_waitcnt lgkmcnt(6)                                       // 00000000D844: BF8CC67F
	v_max3_f32 v188, v172, v173, v188                          // 00000000D848: D1D300BC 06F35BAC
	v_max_f32_e32 v188, v174, v188                             // 00000000D850: 177979AE
	s_waitcnt lgkmcnt(3)                                       // 00000000D854: BF8CC37F
	v_max3_f32 v189, v175, v176, v189                          // 00000000D858: D1D300BD 06F761AF
	v_max_f32_e32 v189, v177, v189                             // 00000000D860: 177B7BB1
	s_waitcnt lgkmcnt(0)                                       // 00000000D864: BF8CC07F
	v_max3_f32 v190, v178, v179, v190                          // 00000000D868: D1D300BE 06FB67B2
	v_max_f32_e32 v190, v180, v190                             // 00000000D870: 177D7DB4
	ds_write_b128 v246, v[188:191] offset:4096                 // 00000000D874: D9BE1000 0000BCF6
	buffer_load_dword v154, v238, s[28:31], 0 offen            // 00000000D87C: E0501000 80079AEE
	v_sub_f32_e32 v200, v194, v197                             // 00000000D884: 05918BC2
	v_cmp_eq_u32_e64 s[84:85], v225, v194                      // 00000000D888: D0CA0054 000385E1
	v_cndmask_b32_e64 v200, v200, 0, s[84:85]                  // 00000000D890: D10000C8 015101C8
	v_mov_b32_e32 v194, v197                                   // 00000000D898: 7F8403C5
	v_mul_f32_e32 v200, s51, v200                              // 00000000D89C: 0B919033
	v_exp_f32_e32 v200, v200                                   // 00000000D8A0: 7F9041C8
	v_sub_f32_e32 v202, v195, v198                             // 00000000D8A4: 05958DC3
	v_cmp_eq_u32_e64 s[84:85], v225, v195                      // 00000000D8A8: D0CA0054 000387E1
	v_cndmask_b32_e64 v202, v202, 0, s[84:85]                  // 00000000D8B0: D10000CA 015101CA
	v_mov_b32_e32 v195, v198                                   // 00000000D8B8: 7F8603C6
	v_mul_f32_e32 v202, s51, v202                              // 00000000D8BC: 0B959433
	v_exp_f32_e32 v202, v202                                   // 00000000D8C0: 7F9441CA
	v_sub_f32_e32 v204, v196, v199                             // 00000000D8C4: 05998FC4
	v_cmp_eq_u32_e64 s[84:85], v225, v196                      // 00000000D8C8: D0CA0054 000389E1
	v_cndmask_b32_e64 v204, v204, 0, s[84:85]                  // 00000000D8D0: D10000CC 015101CC
	v_mov_b32_e32 v196, v199                                   // 00000000D8D8: 7F8803C7
	v_mul_f32_e32 v204, s51, v204                              // 00000000D8DC: 0B999833
	v_exp_f32_e32 v204, v204                                   // 00000000D8E0: 7F9841CC
	v_mov_b32_e32 v201, v200                                   // 00000000D8E4: 7F9203C8
	v_mov_b32_e32 v203, v202                                   // 00000000D8E8: 7F9603CA
	v_mov_b32_e32 v205, v204                                   // 00000000D8EC: 7F9A03CC
	s_waitcnt lgkmcnt(0)                                       // 00000000D8F0: BF8CC07F
	s_barrier                                                  // 00000000D8F4: BF8A0000
	ds_read_b128 v[172:175], v247 offset:4096                  // 00000000D8F8: D9FE1000 AC0000F7
	ds_read_b128 v[176:179], v247 offset:4352                  // 00000000D900: D9FE1100 B00000F7
	ds_read_b128 v[180:183], v247 offset:4608                  // 00000000D908: D9FE1200 B40000F7
	ds_read_b128 v[184:187], v247 offset:4864                  // 00000000D910: D9FE1300 B80000F7
	buffer_load_dword v156, v239, s[32:35], 0 offen            // 00000000D918: E0501000 80089CEF
	v_mul_f32_e32 v206, v200, v206                             // 00000000D920: 0B9D9DC8
	v_mov_b32_e32 v207, 0                                      // 00000000D924: 7F9E0280
	v_pk_add_f32 v[206:207], v[4:5], v[206:207]                // 00000000D928: D3B240CE 18039D04
	v_pk_add_f32 v[206:207], v[6:7], v[206:207]                // 00000000D930: D3B240CE 18039D06
	v_pk_add_f32 v[206:207], v[8:9], v[206:207]                // 00000000D938: D3B240CE 18039D08
	v_pk_add_f32 v[206:207], v[10:11], v[206:207]              // 00000000D940: D3B240CE 18039D0A
	v_pk_add_f32 v[206:207], v[12:13], v[206:207]              // 00000000D948: D3B240CE 18039D0C
	v_pk_add_f32 v[206:207], v[14:15], v[206:207]              // 00000000D950: D3B240CE 18039D0E
	v_pk_add_f32 v[206:207], v[16:17], v[206:207]              // 00000000D958: D3B240CE 18039D10
	v_pk_add_f32 v[206:207], v[18:19], v[206:207]              // 00000000D960: D3B240CE 18039D12
	v_add_f32_e32 v206, v207, v206                             // 00000000D968: 039D9DCF
	v_mul_f32_e32 v208, v202, v208                             // 00000000D96C: 0BA1A1CA
	v_mov_b32_e32 v209, 0                                      // 00000000D970: 7FA20280
	v_pk_add_f32 v[208:209], v[20:21], v[208:209]              // 00000000D974: D3B240D0 1803A114
	v_pk_add_f32 v[208:209], v[22:23], v[208:209]              // 00000000D97C: D3B240D0 1803A116
	v_pk_add_f32 v[208:209], v[24:25], v[208:209]              // 00000000D984: D3B240D0 1803A118
	v_pk_add_f32 v[208:209], v[26:27], v[208:209]              // 00000000D98C: D3B240D0 1803A11A
	v_pk_add_f32 v[208:209], v[28:29], v[208:209]              // 00000000D994: D3B240D0 1803A11C
	v_pk_add_f32 v[208:209], v[30:31], v[208:209]              // 00000000D99C: D3B240D0 1803A11E
	v_pk_add_f32 v[208:209], v[32:33], v[208:209]              // 00000000D9A4: D3B240D0 1803A120
	v_pk_add_f32 v[208:209], v[34:35], v[208:209]              // 00000000D9AC: D3B240D0 1803A122
	v_add_f32_e32 v208, v209, v208                             // 00000000D9B4: 03A1A1D1
	v_mul_f32_e32 v210, v204, v210                             // 00000000D9B8: 0BA5A5CC
	v_mov_b32_e32 v211, 0                                      // 00000000D9BC: 7FA60280
	v_pk_add_f32 v[210:211], v[36:37], v[210:211]              // 00000000D9C0: D3B240D2 1803A524
	v_pk_add_f32 v[210:211], v[38:39], v[210:211]              // 00000000D9C8: D3B240D2 1803A526
	v_pk_add_f32 v[210:211], v[40:41], v[210:211]              // 00000000D9D0: D3B240D2 1803A528
	v_pk_add_f32 v[210:211], v[42:43], v[210:211]              // 00000000D9D8: D3B240D2 1803A52A
	v_add_f32_e32 v210, v211, v210                             // 00000000D9E0: 03A5A5D3
	s_waitcnt lgkmcnt(0)                                       // 00000000D9E4: BF8CC07F
	v_max3_f32 v188, v172, v176, v188                          // 00000000D9E8: D1D300BC 06F361AC
	v_max3_f32 v189, v173, v177, v189                          // 00000000D9F0: D1D300BD 06F763AD
	v_max3_f32 v190, v174, v178, v190                          // 00000000D9F8: D1D300BE 06FB65AE
	v_max3_f32 v188, v180, v184, v188                          // 00000000DA00: D1D300BC 06F371B4
	v_max3_f32 v189, v181, v185, v189                          // 00000000DA08: D1D300BD 06F773B5
	v_max3_f32 v190, v182, v186, v190                          // 00000000DA10: D1D300BE 06FB75B6
	v_rcp_f32_e32 v188, v188                                   // 00000000DA18: 7F7845BC
	v_rcp_f32_e32 v189, v189                                   // 00000000DA1C: 7F7A45BD
	v_rcp_f32_e32 v190, v190                                   // 00000000DA20: 7F7C45BE
	v_mul_f32_e32 v188, 0x43700000, v188                       // 00000000DA24: 0B7978FF 43700000
	v_mul_f32_e32 v189, 0x43700000, v189                       // 00000000DA2C: 0B7B7AFF 43700000
	v_mul_f32_e32 v190, 0x43700000, v190                       // 00000000DA34: 0B7D7CFF 43700000
	v_mov_b32_e32 v192, v190                                   // 00000000DA3C: 7F8003BE
	v_mov_b32_e32 v193, v190                                   // 00000000DA40: 7F8203BE
	v_mov_b32_e32 v190, v189                                   // 00000000DA44: 7F7C03BD
	v_mov_b32_e32 v191, v189                                   // 00000000DA48: 7F7E03BD
	v_mov_b32_e32 v189, v188                                   // 00000000DA4C: 7F7A03BC
	v_pk_mul_f32 v[4:5], v[188:189], v[52:53]                  // 00000000DA50: D3B14004 180269BC
	v_pk_mul_f32 v[6:7], v[188:189], v[54:55]                  // 00000000DA58: D3B14006 18026DBC
	v_pk_mul_f32 v[8:9], v[188:189], v[56:57]                  // 00000000DA60: D3B14008 180271BC
	v_pk_mul_f32 v[10:11], v[188:189], v[58:59]                // 00000000DA68: D3B1400A 180275BC
	v_pk_mul_f32 v[12:13], v[188:189], v[60:61]                // 00000000DA70: D3B1400C 180279BC
	v_pk_mul_f32 v[14:15], v[188:189], v[62:63]                // 00000000DA78: D3B1400E 18027DBC
	v_pk_mul_f32 v[16:17], v[188:189], v[64:65]                // 00000000DA80: D3B14010 180281BC
	v_pk_mul_f32 v[18:19], v[188:189], v[66:67]                // 00000000DA88: D3B14012 180285BC
	v_pk_mul_f32 v[20:21], v[190:191], v[68:69]                // 00000000DA90: D3B14014 180289BE
	v_pk_mul_f32 v[22:23], v[190:191], v[70:71]                // 00000000DA98: D3B14016 18028DBE
	v_pk_mul_f32 v[24:25], v[190:191], v[72:73]                // 00000000DAA0: D3B14018 180291BE
	v_pk_mul_f32 v[26:27], v[190:191], v[74:75]                // 00000000DAA8: D3B1401A 180295BE
	v_pk_mul_f32 v[28:29], v[190:191], v[76:77]                // 00000000DAB0: D3B1401C 180299BE
	v_pk_mul_f32 v[30:31], v[190:191], v[78:79]                // 00000000DAB8: D3B1401E 18029DBE
	v_pk_mul_f32 v[32:33], v[190:191], v[80:81]                // 00000000DAC0: D3B14020 1802A1BE
	v_pk_mul_f32 v[34:35], v[190:191], v[82:83]                // 00000000DAC8: D3B14022 1802A5BE
	v_pk_mul_f32 v[36:37], v[192:193], v[84:85]                // 00000000DAD0: D3B14024 1802A9C0
	v_pk_mul_f32 v[38:39], v[192:193], v[86:87]                // 00000000DAD8: D3B14026 1802ADC0
	v_pk_mul_f32 v[40:41], v[192:193], v[88:89]                // 00000000DAE0: D3B14028 1802B1C0
	v_pk_mul_f32 v[42:43], v[192:193], v[90:91]                // 00000000DAE8: D3B1402A 1802B5C0
	v_cvt_pk_fp8_f32 v4, v4, v5                                // 00000000DAF0: D2A20004 00020B04
	v_cvt_pk_fp8_f32 v4, v6, v7 op_sel:[0,0,1]                 // 00000000DAF8: D2A24004 00020F06
	v_cvt_pk_fp8_f32 v5, v8, v9                                // 00000000DB00: D2A20005 00021308
	v_cvt_pk_fp8_f32 v5, v10, v11 op_sel:[0,0,1]               // 00000000DB08: D2A24005 0002170A
	v_cvt_pk_fp8_f32 v6, v12, v13                              // 00000000DB10: D2A20006 00021B0C
	v_cvt_pk_fp8_f32 v6, v14, v15 op_sel:[0,0,1]               // 00000000DB18: D2A24006 00021F0E
	v_cvt_pk_fp8_f32 v7, v16, v17                              // 00000000DB20: D2A20007 00022310
	v_cvt_pk_fp8_f32 v7, v18, v19 op_sel:[0,0,1]               // 00000000DB28: D2A24007 00022712
	v_cvt_pk_fp8_f32 v8, v20, v21                              // 00000000DB30: D2A20008 00022B14
	v_cvt_pk_fp8_f32 v8, v22, v23 op_sel:[0,0,1]               // 00000000DB38: D2A24008 00022F16
	v_cvt_pk_fp8_f32 v9, v24, v25                              // 00000000DB40: D2A20009 00023318
	v_cvt_pk_fp8_f32 v9, v26, v27 op_sel:[0,0,1]               // 00000000DB48: D2A24009 0002371A
	v_cvt_pk_fp8_f32 v10, v28, v29                             // 00000000DB50: D2A2000A 00023B1C
	v_cvt_pk_fp8_f32 v10, v30, v31 op_sel:[0,0,1]              // 00000000DB58: D2A2400A 00023F1E
	v_cvt_pk_fp8_f32 v11, v32, v33                             // 00000000DB60: D2A2000B 00024320
	v_cvt_pk_fp8_f32 v11, v34, v35 op_sel:[0,0,1]              // 00000000DB68: D2A2400B 00024722
	v_cvt_pk_fp8_f32 v12, v36, v37                             // 00000000DB70: D2A2000C 00024B24
	v_cvt_pk_fp8_f32 v12, v38, v39 op_sel:[0,0,1]              // 00000000DB78: D2A2400C 00024F26
	v_cvt_pk_fp8_f32 v13, v40, v41                             // 00000000DB80: D2A2000D 00025328
	v_cvt_pk_fp8_f32 v13, v42, v43 op_sel:[0,0,1]              // 00000000DB88: D2A2400D 0002572A
	v_mov_b32_dpp v14, v12 row_shl:8 row_mask:0xf bank_mask:0xf bound_ctrl:1// 00000000DB90: 7E1C02FA FF09080C
	v_and_b32_e32 v12, v12, v224                               // 00000000DB98: 2619C10C
	v_mov_b32_dpp v15, v13 row_shl:8 row_mask:0xf bank_mask:0xf bound_ctrl:1// 00000000DB9C: 7E1E02FA FF09080D
	v_and_b32_e32 v13, v13, v224                               // 00000000DBA4: 261BC10D
	ds_write_b32 v248, v4 offset:8192                          // 00000000DBA8: D81A2000 000004F8
	ds_write_b32 v248, v5 offset:9216                          // 00000000DBB0: D81A2400 000005F8
	ds_write_b32 v248, v6 offset:10240                         // 00000000DBB8: D81A2800 000006F8
	ds_write_b32 v248, v7 offset:11264                         // 00000000DBC0: D81A2C00 000007F8
	ds_write_b32 v248, v8 offset:12288                         // 00000000DBC8: D81A3000 000008F8
	ds_write_b32 v248, v9 offset:13312                         // 00000000DBD0: D81A3400 000009F8
	ds_write_b32 v248, v10 offset:14336                        // 00000000DBD8: D81A3800 00000AF8
	ds_write_b32 v248, v11 offset:15360                        // 00000000DBE0: D81A3C00 00000BF8
	ds_write_b32 v248, v12 offset:16384                        // 00000000DBE8: D81A4000 00000CF8
	ds_write_b32 v248, v13 offset:17408                        // 00000000DBF0: D81A4400 00000DF8
	ds_write_b32 v248, v14 offset:18432                        // 00000000DBF8: D81A4800 00000EF8
	ds_write_b32 v248, v15 offset:19456                        // 00000000DC00: D81A4C00 00000FF8
	v_rcp_f32_e32 v158, v188                                   // 00000000DC08: 7F3C45BC
	v_rcp_f32_e32 v160, v190                                   // 00000000DC0C: 7F4045BE
	v_rcp_f32_e32 v162, v192                                   // 00000000DC10: 7F4445C0
	v_mov_b32_e32 v159, v158                                   // 00000000DC14: 7F3E039E
	v_mov_b32_e32 v161, v160                                   // 00000000DC18: 7F4203A0
	v_mov_b32_e32 v163, v162                                   // 00000000DC1C: 7F4603A2
	v_pk_add_f32 v[124:125], v[124:125], v[100:101]            // 00000000DC20: D3B2407C 1802C97C
	v_pk_add_f32 v[126:127], v[126:127], v[102:103]            // 00000000DC28: D3B2407E 1802CD7E
	v_pk_add_f32 v[128:129], v[128:129], v[104:105]            // 00000000DC30: D3B24080 1802D180
	v_pk_add_f32 v[130:131], v[130:131], v[106:107]            // 00000000DC38: D3B24082 1802D582
	v_pk_add_f32 v[132:133], v[132:133], v[108:109]            // 00000000DC40: D3B24084 1802D984
	v_pk_add_f32 v[134:135], v[134:135], v[110:111]            // 00000000DC48: D3B24086 1802DD86
	v_pk_add_f32 v[136:137], v[136:137], v[112:113]            // 00000000DC50: D3B24088 1802E188
	v_pk_add_f32 v[138:139], v[138:139], v[114:115]            // 00000000DC58: D3B2408A 1802E58A
	v_pk_add_f32 v[140:141], v[140:141], v[116:117]            // 00000000DC60: D3B2408C 1802E98C
	v_pk_add_f32 v[142:143], v[142:143], v[118:119]            // 00000000DC68: D3B2408E 1802ED8E
	v_pk_add_f32 v[144:145], v[144:145], v[120:121]            // 00000000DC70: D3B24090 1802F190
	v_pk_add_f32 v[146:147], v[146:147], v[122:123]            // 00000000DC78: D3B24092 1802F592
	s_waitcnt lgkmcnt(0)                                       // 00000000DC80: BF8CC07F
	s_barrier                                                  // 00000000DC84: BF8A0000
	ds_read_b128 v[4:7], v249 offset:8192                      // 00000000DC88: D9FE2000 040000F9
	ds_read_b128 v[8:11], v249 offset:9216                     // 00000000DC90: D9FE2400 080000F9
	ds_read_b128 v[12:15], v249 offset:10240                   // 00000000DC98: D9FE2800 0C0000F9
	ds_read_b128 v[16:19], v249 offset:11264                   // 00000000DCA0: D9FE2C00 100000F9
	ds_read_b128 v[20:23], v249 offset:12288                   // 00000000DCA8: D9FE3000 140000F9
	ds_read_b128 v[24:27], v249 offset:13312                   // 00000000DCB0: D9FE3400 180000F9
	ds_read_b128 v[28:31], v249 offset:14336                   // 00000000DCB8: D9FE3800 1C0000F9
	ds_read_b128 v[32:35], v249 offset:15360                   // 00000000DCC0: D9FE3C00 200000F9
	ds_read_b128 v[36:39], v249 offset:16384                   // 00000000DCC8: D9FE4000 240000F9
	ds_read_b128 v[40:43], v249 offset:17408                   // 00000000DCD0: D9FE4400 280000F9
	ds_read_b128 v[44:47], v249 offset:18432                   // 00000000DCD8: D9FE4800 2C0000F9
	ds_read_b128 v[48:51], v249 offset:19456                   // 00000000DCE0: D9FE4C00 300000F9
	s_waitcnt vmcnt(10)                                        // 00000000DCE8: BF8C0F7A
	s_waitcnt lgkmcnt(11)                                      // 00000000DCEC: BF8CCB7F
	v_mfma_f32_16x16x32_fp8_fp8 v[100:103], a[120:121], v[4:5], 0// 00000000DCF0: D3F30064 0A020978
	v_mfma_f32_16x16x32_fp8_fp8 v[104:107], a[136:137], v[4:5], 0// 00000000DCF8: D3F30068 0A020988
	v_mfma_f32_16x16x32_fp8_fp8 v[100:103], a[122:123], v[6:7], v[100:103]// 00000000DD00: D3F30064 0D920D7A
	buffer_load_dwordx4 a[88:91], v234, s[16:19], 0 offen      // 00000000DD08: E05C1000 808458EA
	v_mfma_f32_16x16x32_fp8_fp8 v[104:107], a[138:139], v[6:7], v[104:107]// 00000000DD10: D3F30068 0DA20D8A
	s_waitcnt lgkmcnt(10)                                      // 00000000DD18: BF8CCA7F
	v_mfma_f32_16x16x32_fp8_fp8 v[100:103], a[124:125], v[8:9], v[100:103]// 00000000DD1C: D3F30064 0D92117C
	v_mfma_f32_16x16x32_fp8_fp8 v[104:107], a[140:141], v[8:9], v[104:107]// 00000000DD24: D3F30068 0DA2118C
	v_mfma_f32_16x16x32_fp8_fp8 v[100:103], a[126:127], v[10:11], v[100:103]// 00000000DD2C: D3F30064 0D92157E
	buffer_load_dwordx4 a[92:95], v235, s[16:19], 0 offen      // 00000000DD34: E05C1000 80845CEB
	v_mfma_f32_16x16x32_fp8_fp8 v[104:107], a[142:143], v[10:11], v[104:107]// 00000000DD3C: D3F30068 0DA2158E
	s_waitcnt lgkmcnt(9)                                       // 00000000DD44: BF8CC97F
	v_mfma_f32_16x16x32_fp8_fp8 v[100:103], a[128:129], v[12:13], v[100:103]// 00000000DD48: D3F30064 0D921980
	v_mfma_f32_16x16x32_fp8_fp8 v[104:107], a[144:145], v[12:13], v[104:107]// 00000000DD50: D3F30068 0DA21990
	v_mfma_f32_16x16x32_fp8_fp8 v[100:103], a[130:131], v[14:15], v[100:103]// 00000000DD58: D3F30064 0D921D82
	buffer_load_dwordx4 a[96:99], v236, s[16:19], 0 offen      // 00000000DD60: E05C1000 808460EC
	v_mfma_f32_16x16x32_fp8_fp8 v[104:107], a[146:147], v[14:15], v[104:107]// 00000000DD68: D3F30068 0DA21D92
	s_waitcnt lgkmcnt(8)                                       // 00000000DD70: BF8CC87F
	v_mfma_f32_16x16x32_fp8_fp8 v[100:103], a[132:133], v[16:17], v[100:103]// 00000000DD74: D3F30064 0D922184
	v_mfma_f32_16x16x32_fp8_fp8 v[104:107], a[148:149], v[16:17], v[104:107]// 00000000DD7C: D3F30068 0DA22194
	v_mfma_f32_16x16x32_fp8_fp8 v[100:103], a[134:135], v[18:19], v[100:103]// 00000000DD84: D3F30064 0D922586
	buffer_load_dwordx4 a[100:103], v237, s[16:19], 0 offen    // 00000000DD8C: E05C1000 808464ED
	v_mfma_f32_16x16x32_fp8_fp8 v[104:107], a[150:151], v[18:19], v[104:107]// 00000000DD94: D3F30068 0DA22596
	s_waitcnt lgkmcnt(7)                                       // 00000000DD9C: BF8CC77F
	v_mfma_f32_16x16x32_fp8_fp8 v[108:111], a[120:121], v[20:21], 0// 00000000DDA0: D3F3006C 0A022978
	v_mfma_f32_16x16x32_fp8_fp8 v[112:115], a[136:137], v[20:21], 0// 00000000DDA8: D3F30070 0A022988
	v_mfma_f32_16x16x32_fp8_fp8 v[108:111], a[122:123], v[22:23], v[108:111]// 00000000DDB0: D3F3006C 0DB22D7A
	buffer_load_dwordx4 a[104:107], v234, s[16:19], 0 offen offset:1024// 00000000DDB8: E05C1400 808468EA
	v_mfma_f32_16x16x32_fp8_fp8 v[112:115], a[138:139], v[22:23], v[112:115]// 00000000DDC0: D3F30070 0DC22D8A
	s_waitcnt lgkmcnt(6)                                       // 00000000DDC8: BF8CC67F
	v_mfma_f32_16x16x32_fp8_fp8 v[108:111], a[124:125], v[24:25], v[108:111]// 00000000DDCC: D3F3006C 0DB2317C
	v_mfma_f32_16x16x32_fp8_fp8 v[112:115], a[140:141], v[24:25], v[112:115]// 00000000DDD4: D3F30070 0DC2318C
	v_mfma_f32_16x16x32_fp8_fp8 v[108:111], a[126:127], v[26:27], v[108:111]// 00000000DDDC: D3F3006C 0DB2357E
	buffer_load_dwordx4 a[108:111], v235, s[16:19], 0 offen offset:1024// 00000000DDE4: E05C1400 80846CEB
	v_mfma_f32_16x16x32_fp8_fp8 v[112:115], a[142:143], v[26:27], v[112:115]// 00000000DDEC: D3F30070 0DC2358E
	s_waitcnt lgkmcnt(5)                                       // 00000000DDF4: BF8CC57F
	v_mfma_f32_16x16x32_fp8_fp8 v[108:111], a[128:129], v[28:29], v[108:111]// 00000000DDF8: D3F3006C 0DB23980
	v_mfma_f32_16x16x32_fp8_fp8 v[112:115], a[144:145], v[28:29], v[112:115]// 00000000DE00: D3F30070 0DC23990
	v_mfma_f32_16x16x32_fp8_fp8 v[108:111], a[130:131], v[30:31], v[108:111]// 00000000DE08: D3F3006C 0DB23D82
	buffer_load_dwordx4 a[112:115], v236, s[16:19], 0 offen offset:1024// 00000000DE10: E05C1400 808470EC
	v_mfma_f32_16x16x32_fp8_fp8 v[112:115], a[146:147], v[30:31], v[112:115]// 00000000DE18: D3F30070 0DC23D92
	s_waitcnt lgkmcnt(4)                                       // 00000000DE20: BF8CC47F
	v_mfma_f32_16x16x32_fp8_fp8 v[108:111], a[132:133], v[32:33], v[108:111]// 00000000DE24: D3F3006C 0DB24184
	v_mfma_f32_16x16x32_fp8_fp8 v[112:115], a[148:149], v[32:33], v[112:115]// 00000000DE2C: D3F30070 0DC24194
	v_mfma_f32_16x16x32_fp8_fp8 v[108:111], a[134:135], v[34:35], v[108:111]// 00000000DE34: D3F3006C 0DB24586
	buffer_load_dwordx4 a[116:119], v237, s[16:19], 0 offen offset:1024// 00000000DE3C: E05C1400 808474ED
	v_mfma_f32_16x16x32_fp8_fp8 v[112:115], a[150:151], v[34:35], v[112:115]// 00000000DE44: D3F30070 0DC24596
	s_waitcnt lgkmcnt(3)                                       // 00000000DE4C: BF8CC37F
	v_mfma_f32_16x16x32_fp8_fp8 v[116:119], a[120:121], v[36:37], 0// 00000000DE50: D3F30074 0A024978
	v_mfma_f32_16x16x32_fp8_fp8 v[120:123], a[136:137], v[36:37], 0// 00000000DE58: D3F30078 0A024988
	v_mfma_f32_16x16x32_fp8_fp8 v[116:119], a[122:123], v[38:39], v[116:119]// 00000000DE60: D3F30074 0DD24D7A
	v_mfma_f32_16x16x32_fp8_fp8 v[120:123], a[138:139], v[38:39], v[120:123]// 00000000DE68: D3F30078 0DE24D8A
	s_waitcnt lgkmcnt(2)                                       // 00000000DE70: BF8CC27F
	v_mfma_f32_16x16x32_fp8_fp8 v[116:119], a[124:125], v[40:41], v[116:119]// 00000000DE74: D3F30074 0DD2517C
	v_mfma_f32_16x16x32_fp8_fp8 v[120:123], a[140:141], v[40:41], v[120:123]// 00000000DE7C: D3F30078 0DE2518C
	v_mfma_f32_16x16x32_fp8_fp8 v[116:119], a[126:127], v[42:43], v[116:119]// 00000000DE84: D3F30074 0DD2557E
	v_mfma_f32_16x16x32_fp8_fp8 v[120:123], a[142:143], v[42:43], v[120:123]// 00000000DE8C: D3F30078 0DE2558E
	s_waitcnt lgkmcnt(1)                                       // 00000000DE94: BF8CC17F
	v_mfma_f32_16x16x32_fp8_fp8 v[116:119], a[128:129], v[44:45], v[116:119]// 00000000DE98: D3F30074 0DD25980
	v_mfma_f32_16x16x32_fp8_fp8 v[120:123], a[144:145], v[44:45], v[120:123]// 00000000DEA0: D3F30078 0DE25990
	v_mfma_f32_16x16x32_fp8_fp8 v[116:119], a[130:131], v[46:47], v[116:119]// 00000000DEA8: D3F30074 0DD25D82
	v_mfma_f32_16x16x32_fp8_fp8 v[120:123], a[146:147], v[46:47], v[120:123]// 00000000DEB0: D3F30078 0DE25D92
	s_waitcnt lgkmcnt(0)                                       // 00000000DEB8: BF8CC07F
	v_mfma_f32_16x16x32_fp8_fp8 v[116:119], a[132:133], v[48:49], v[116:119]// 00000000DEBC: D3F30074 0DD26184
	v_mfma_f32_16x16x32_fp8_fp8 v[120:123], a[148:149], v[48:49], v[120:123]// 00000000DEC4: D3F30078 0DE26194
	v_mfma_f32_16x16x32_fp8_fp8 v[116:119], a[134:135], v[50:51], v[116:119]// 00000000DECC: D3F30074 0DD26586
	v_mfma_f32_16x16x32_fp8_fp8 v[120:123], a[150:151], v[50:51], v[120:123]// 00000000DED4: D3F30078 0DE26596
	s_addk_i32 s49, 0x100                                      // 00000000DEDC: B7310100
	s_branch label_3A14                                        // 00000000DEE0: BF820A9B

000000000000dee4 <label_2F79>:
	s_cmp_lt_i32 s49, s60                                      // 00000000DEE4: BF043C31
	s_cbranch_scc0 label_3A14                                  // 00000000DEE8: BF840A99
	s_waitcnt vmcnt(10)                                        // 00000000DEEC: BF8C0F7A
	v_mfma_f32_16x16x32_fp8_fp8 v[4:7], a[24:25], a[0:1], 0    // 00000000DEF0: D3F30004 1A020118
	s_add_u32 s12, s76, s64                                    // 00000000DEF8: 800C404C
	s_addc_u32 s13, s77, 0                                     // 00000000DEFC: 820D804D
	v_mfma_f32_16x16x32_fp8_fp8 v[4:7], a[26:27], a[2:3], v[4:7]// 00000000DF00: D3F30004 1C12051A
	s_add_u32 s16, s78, s65                                    // 00000000DF08: 8010414E
	s_addc_u32 s17, s79, 0                                     // 00000000DF0C: 8211804F
	v_mfma_f32_16x16x32_fp8_fp8 v[4:7], a[28:29], a[4:5], v[4:7]// 00000000DF10: D3F30004 1C12091C
	buffer_load_dwordx4 a[56:59], v232, s[12:15], 0 offen      // 00000000DF18: E05C1000 808338E8
	v_mfma_f32_16x16x32_fp8_fp8 v[4:7], a[30:31], a[6:7], v[4:7]// 00000000DF20: D3F30004 1C120D1E
	s_add_u32 s28, s80, s66                                    // 00000000DF28: 801C4250
	s_addc_u32 s29, s81, 0                                     // 00000000DF2C: 821D8051
	v_mfma_f32_16x16x32_fp8_fp8 v[8:11], a[32:33], a[0:1], 0   // 00000000DF30: D3F30008 1A020120
	s_add_u32 s32, s82, s66                                    // 00000000DF38: 80204252
	s_addc_u32 s33, s83, 0                                     // 00000000DF3C: 82218053
	v_mfma_f32_16x16x32_fp8_fp8 v[8:11], a[34:35], a[2:3], v[8:11]// 00000000DF40: D3F30008 1C220522
	s_mul_i32 s64, s61, s56                                    // 00000000DF48: 9240383D
	s_mov_b32 s65, s64                                         // 00000000DF4C: BEC10040
	v_mfma_f32_16x16x32_fp8_fp8 v[8:11], a[36:37], a[4:5], v[8:11]// 00000000DF50: D3F30008 1C220924
	buffer_load_dwordx4 a[60:63], v233, s[12:15], 0 offen      // 00000000DF58: E05C1000 80833CE9
	v_mfma_f32_16x16x32_fp8_fp8 v[8:11], a[38:39], a[6:7], v[8:11]// 00000000DF60: D3F30008 1C220D26
	s_mul_i32 s66, s61, s58                                    // 00000000DF68: 92423A3D
	v_mfma_f32_16x16x32_fp8_fp8 v[12:15], a[40:41], a[0:1], 0  // 00000000DF6C: D3F3000C 1A020128
	v_mfma_f32_16x16x32_fp8_fp8 v[12:15], a[42:43], a[2:3], v[12:15]// 00000000DF74: D3F3000C 1C32052A
	v_mfma_f32_16x16x32_fp8_fp8 v[12:15], a[44:45], a[4:5], v[12:15]// 00000000DF7C: D3F3000C 1C32092C
	buffer_load_dwordx4 a[64:67], v232, s[12:15], 0 offen offset:1024// 00000000DF84: E05C1400 808340E8
	v_mfma_f32_16x16x32_fp8_fp8 v[12:15], a[46:47], a[6:7], v[12:15]// 00000000DF8C: D3F3000C 1C320D2E
	v_mfma_f32_16x16x32_fp8_fp8 v[16:19], a[48:49], a[0:1], 0  // 00000000DF94: D3F30010 1A020130
	v_mfma_f32_16x16x32_fp8_fp8 v[16:19], a[50:51], a[2:3], v[16:19]// 00000000DF9C: D3F30010 1C420532
	v_mfma_f32_16x16x32_fp8_fp8 v[16:19], a[52:53], a[4:5], v[16:19]// 00000000DFA4: D3F30010 1C420934
	buffer_load_dwordx4 a[68:71], v233, s[12:15], 0 offen offset:1024// 00000000DFAC: E05C1400 808344E9
	v_mfma_f32_16x16x32_fp8_fp8 v[16:19], a[54:55], a[6:7], v[16:19]// 00000000DFB4: D3F30010 1C420D36
	v_mfma_f32_16x16x32_fp8_fp8 v[20:23], a[24:25], a[8:9], 0  // 00000000DFBC: D3F30014 1A021118
	v_mfma_f32_16x16x32_fp8_fp8 v[20:23], a[26:27], a[10:11], v[20:23]// 00000000DFC4: D3F30014 1C52151A
	v_mfma_f32_16x16x32_fp8_fp8 v[20:23], a[28:29], a[12:13], v[20:23]// 00000000DFCC: D3F30014 1C52191C
	buffer_load_dwordx4 a[72:75], v232, s[12:15], 0 offen offset:2048// 00000000DFD4: E05C1800 808348E8
	v_mfma_f32_16x16x32_fp8_fp8 v[20:23], a[30:31], a[14:15], v[20:23]// 00000000DFDC: D3F30014 1C521D1E
	v_mfma_f32_16x16x32_fp8_fp8 v[24:27], a[32:33], a[8:9], 0  // 00000000DFE4: D3F30018 1A021120
	v_mfma_f32_16x16x32_fp8_fp8 v[24:27], a[34:35], a[10:11], v[24:27]// 00000000DFEC: D3F30018 1C621522
	v_mfma_f32_16x16x32_fp8_fp8 v[24:27], a[36:37], a[12:13], v[24:27]// 00000000DFF4: D3F30018 1C621924
	buffer_load_dwordx4 a[76:79], v233, s[12:15], 0 offen offset:2048// 00000000DFFC: E05C1800 80834CE9
	v_mfma_f32_16x16x32_fp8_fp8 v[24:27], a[38:39], a[14:15], v[24:27]// 00000000E004: D3F30018 1C621D26
	v_mfma_f32_16x16x32_fp8_fp8 v[28:31], a[40:41], a[8:9], 0  // 00000000E00C: D3F3001C 1A021128
	v_mfma_f32_16x16x32_fp8_fp8 v[28:31], a[42:43], a[10:11], v[28:31]// 00000000E014: D3F3001C 1C72152A
	v_mfma_f32_16x16x32_fp8_fp8 v[28:31], a[44:45], a[12:13], v[28:31]// 00000000E01C: D3F3001C 1C72192C
	buffer_load_dwordx4 a[80:83], v232, s[12:15], 0 offen offset:3072// 00000000E024: E05C1C00 808350E8
	v_mfma_f32_16x16x32_fp8_fp8 v[28:31], a[46:47], a[14:15], v[28:31]// 00000000E02C: D3F3001C 1C721D2E
	v_mfma_f32_16x16x32_fp8_fp8 v[32:35], a[48:49], a[8:9], 0  // 00000000E034: D3F30020 1A021130
	v_mfma_f32_16x16x32_fp8_fp8 v[32:35], a[50:51], a[10:11], v[32:35]// 00000000E03C: D3F30020 1C821532
	v_mfma_f32_16x16x32_fp8_fp8 v[32:35], a[52:53], a[12:13], v[32:35]// 00000000E044: D3F30020 1C821934
	buffer_load_dwordx4 a[84:87], v233, s[12:15], 0 offen offset:3072// 00000000E04C: E05C1C00 808354E9
	v_mfma_f32_16x16x32_fp8_fp8 v[32:35], a[54:55], a[14:15], v[32:35]// 00000000E054: D3F30020 1C821D36
	v_mfma_f32_16x16x32_fp8_fp8 v[36:39], a[24:25], a[16:17], 0// 00000000E05C: D3F30024 1A022118
	v_mfma_f32_16x16x32_fp8_fp8 v[36:39], a[26:27], a[18:19], v[36:39]// 00000000E064: D3F30024 1C92251A
	v_mfma_f32_16x16x32_fp8_fp8 v[36:39], a[28:29], a[20:21], v[36:39]// 00000000E06C: D3F30024 1C92291C
	v_mfma_f32_16x16x32_fp8_fp8 v[36:39], a[30:31], a[22:23], v[36:39]// 00000000E074: D3F30024 1C922D1E
	v_mfma_f32_16x16x32_fp8_fp8 v[40:43], a[32:33], a[16:17], 0// 00000000E07C: D3F30028 1A022120
	v_mfma_f32_16x16x32_fp8_fp8 v[40:43], a[34:35], a[18:19], v[40:43]// 00000000E084: D3F30028 1CA22522
	v_mfma_f32_16x16x32_fp8_fp8 v[40:43], a[36:37], a[20:21], v[40:43]// 00000000E08C: D3F30028 1CA22924
	v_mfma_f32_16x16x32_fp8_fp8 v[40:43], a[38:39], a[22:23], v[40:43]// 00000000E094: D3F30028 1CA22D26
	v_mfma_f32_16x16x32_fp8_fp8 v[44:47], a[40:41], a[16:17], 0// 00000000E09C: D3F3002C 1A022128
	v_mfma_f32_16x16x32_fp8_fp8 v[44:47], a[42:43], a[18:19], v[44:47]// 00000000E0A4: D3F3002C 1CB2252A
	v_mfma_f32_16x16x32_fp8_fp8 v[44:47], a[44:45], a[20:21], v[44:47]// 00000000E0AC: D3F3002C 1CB2292C
	v_mfma_f32_16x16x32_fp8_fp8 v[44:47], a[46:47], a[22:23], v[44:47]// 00000000E0B4: D3F3002C 1CB22D2E
	v_mfma_f32_16x16x32_fp8_fp8 v[48:51], a[48:49], a[16:17], 0// 00000000E0BC: D3F30030 1A022130
	v_mfma_f32_16x16x32_fp8_fp8 v[48:51], a[50:51], a[18:19], v[48:51]// 00000000E0C4: D3F30030 1CC22532
	v_mfma_f32_16x16x32_fp8_fp8 v[48:51], a[52:53], a[20:21], v[48:51]// 00000000E0CC: D3F30030 1CC22934
	v_mfma_f32_16x16x32_fp8_fp8 v[48:51], a[54:55], a[22:23], v[48:51]// 00000000E0D4: D3F30030 1CC22D36
	s_waitcnt vmcnt(16)                                        // 00000000E0DC: BF8C4F70
	v_or_b32_dpp v36, v44, v36 row_shr:8 row_mask:0xf bank_mask:0xf bound_ctrl:1// 00000000E0E0: 284848FA FF09182C
	v_or_b32_dpp v37, v45, v37 row_shr:8 row_mask:0xf bank_mask:0xf bound_ctrl:1// 00000000E0E8: 284A4AFA FF09182D
	v_or_b32_dpp v38, v46, v38 row_shr:8 row_mask:0xf bank_mask:0xf bound_ctrl:1// 00000000E0F0: 284C4CFA FF09182E
	v_or_b32_dpp v39, v47, v39 row_shr:8 row_mask:0xf bank_mask:0xf bound_ctrl:1// 00000000E0F8: 284E4EFA FF09182F
	v_or_b32_dpp v40, v48, v40 row_shr:8 row_mask:0xf bank_mask:0xf bound_ctrl:1// 00000000E100: 285050FA FF091830
	v_or_b32_dpp v41, v49, v41 row_shr:8 row_mask:0xf bank_mask:0xf bound_ctrl:1// 00000000E108: 285252FA FF091831
	v_or_b32_dpp v42, v50, v42 row_shr:8 row_mask:0xf bank_mask:0xf bound_ctrl:1// 00000000E110: 285454FA FF091832
	v_or_b32_dpp v43, v51, v43 row_shr:8 row_mask:0xf bank_mask:0xf bound_ctrl:1// 00000000E118: 285656FA FF091833
	v_mov_b32_dpp v168, v154 row_shr:4 row_mask:0xf bank_mask:0xf// 00000000E120: 7F5002FA FF01149A
	v_mov_b32_dpp v169, v154 row_shl:4 row_mask:0xf bank_mask:0xf// 00000000E128: 7F5202FA FF01049A
	v_cndmask_b32_e64 v164, v154, v168, s[90:91]               // 00000000E130: D10000A4 016B519A
	v_cndmask_b32_e64 v165, v169, v154, s[90:91]               // 00000000E138: D10000A5 016B35A9
	v_mov_b32_dpp v168, v156 row_shr:4 row_mask:0xf bank_mask:0xf// 00000000E140: 7F5002FA FF01149C
	v_mov_b32_dpp v169, v156 row_shl:4 row_mask:0xf bank_mask:0xf// 00000000E148: 7F5202FA FF01049C
	v_cndmask_b32_e64 v166, v156, v168, s[90:91]               // 00000000E150: D10000A6 016B519C
	v_cndmask_b32_e64 v167, v169, v156, s[90:91]               // 00000000E158: D10000A7 016B39A9
	v_pk_mul_f32 v[4:5], v[148:149], v[4:5]                    // 00000000E160: D3B14004 18020994
	v_pk_mul_f32 v[6:7], v[148:149], v[6:7]                    // 00000000E168: D3B14006 18020D94
	v_pk_mul_f32 v[8:9], v[148:149], v[8:9]                    // 00000000E170: D3B14008 18021194
	v_pk_mul_f32 v[10:11], v[148:149], v[10:11]                // 00000000E178: D3B1400A 18021594
	v_pk_mul_f32 v[12:13], v[148:149], v[12:13]                // 00000000E180: D3B1400C 18021994
	v_pk_mul_f32 v[14:15], v[148:149], v[14:15]                // 00000000E188: D3B1400E 18021D94
	v_pk_mul_f32 v[16:17], v[148:149], v[16:17]                // 00000000E190: D3B14010 18022194
	v_pk_mul_f32 v[18:19], v[148:149], v[18:19]                // 00000000E198: D3B14012 18022594
	v_mul_f32_dpp v4, v154, v4 row_newbcast:0 row_mask:0xf bank_mask:0xf// 00000000E1A0: 0A0808FA FF01509A
	v_mul_f32_dpp v5, v154, v5 row_newbcast:1 row_mask:0xf bank_mask:0xf// 00000000E1A8: 0A0A0AFA FF01519A
	v_mul_f32_dpp v6, v154, v6 row_newbcast:2 row_mask:0xf bank_mask:0xf// 00000000E1B0: 0A0C0CFA FF01529A
	v_mul_f32_dpp v7, v154, v7 row_newbcast:3 row_mask:0xf bank_mask:0xf// 00000000E1B8: 0A0E0EFA FF01539A
	v_mul_f32_dpp v8, v154, v8 row_newbcast:4 row_mask:0xf bank_mask:0xf// 00000000E1C0: 0A1010FA FF01549A
	v_mul_f32_dpp v9, v154, v9 row_newbcast:5 row_mask:0xf bank_mask:0xf// 00000000E1C8: 0A1212FA FF01559A
	v_mul_f32_dpp v10, v154, v10 row_newbcast:6 row_mask:0xf bank_mask:0xf// 00000000E1D0: 0A1414FA FF01569A
	v_mul_f32_dpp v11, v154, v11 row_newbcast:7 row_mask:0xf bank_mask:0xf// 00000000E1D8: 0A1616FA FF01579A
	v_mul_f32_dpp v12, v154, v12 row_newbcast:8 row_mask:0xf bank_mask:0xf// 00000000E1E0: 0A1818FA FF01589A
	v_mul_f32_dpp v13, v154, v13 row_newbcast:9 row_mask:0xf bank_mask:0xf// 00000000E1E8: 0A1A1AFA FF01599A
	v_mul_f32_dpp v14, v154, v14 row_newbcast:10 row_mask:0xf bank_mask:0xf// 00000000E1F0: 0A1C1CFA FF015A9A
	v_mul_f32_dpp v15, v154, v15 row_newbcast:11 row_mask:0xf bank_mask:0xf// 00000000E1F8: 0A1E1EFA FF015B9A
	v_mul_f32_dpp v16, v154, v16 row_newbcast:12 row_mask:0xf bank_mask:0xf// 00000000E200: 0A2020FA FF015C9A
	v_mul_f32_dpp v17, v154, v17 row_newbcast:13 row_mask:0xf bank_mask:0xf// 00000000E208: 0A2222FA FF015D9A
	v_mul_f32_dpp v18, v154, v18 row_newbcast:14 row_mask:0xf bank_mask:0xf// 00000000E210: 0A2424FA FF015E9A
	v_mul_f32_dpp v19, v154, v19 row_newbcast:15 row_mask:0xf bank_mask:0xf// 00000000E218: 0A2626FA FF015F9A
	v_pk_mul_f32 v[20:21], v[150:151], v[20:21]                // 00000000E220: D3B14014 18022996
	v_pk_mul_f32 v[22:23], v[150:151], v[22:23]                // 00000000E228: D3B14016 18022D96
	v_pk_mul_f32 v[24:25], v[150:151], v[24:25]                // 00000000E230: D3B14018 18023196
	v_pk_mul_f32 v[26:27], v[150:151], v[26:27]                // 00000000E238: D3B1401A 18023596
	v_pk_mul_f32 v[28:29], v[150:151], v[28:29]                // 00000000E240: D3B1401C 18023996
	v_pk_mul_f32 v[30:31], v[150:151], v[30:31]                // 00000000E248: D3B1401E 18023D96
	v_pk_mul_f32 v[32:33], v[150:151], v[32:33]                // 00000000E250: D3B14020 18024196
	v_pk_mul_f32 v[34:35], v[150:151], v[34:35]                // 00000000E258: D3B14022 18024596
	v_mul_f32_dpp v20, v154, v20 row_newbcast:0 row_mask:0xf bank_mask:0xf// 00000000E260: 0A2828FA FF01509A
	v_mul_f32_dpp v21, v154, v21 row_newbcast:1 row_mask:0xf bank_mask:0xf// 00000000E268: 0A2A2AFA FF01519A
	v_mul_f32_dpp v22, v154, v22 row_newbcast:2 row_mask:0xf bank_mask:0xf// 00000000E270: 0A2C2CFA FF01529A
	v_mul_f32_dpp v23, v154, v23 row_newbcast:3 row_mask:0xf bank_mask:0xf// 00000000E278: 0A2E2EFA FF01539A
	v_mul_f32_dpp v24, v154, v24 row_newbcast:4 row_mask:0xf bank_mask:0xf// 00000000E280: 0A3030FA FF01549A
	v_mul_f32_dpp v25, v154, v25 row_newbcast:5 row_mask:0xf bank_mask:0xf// 00000000E288: 0A3232FA FF01559A
	v_mul_f32_dpp v26, v154, v26 row_newbcast:6 row_mask:0xf bank_mask:0xf// 00000000E290: 0A3434FA FF01569A
	v_mul_f32_dpp v27, v154, v27 row_newbcast:7 row_mask:0xf bank_mask:0xf// 00000000E298: 0A3636FA FF01579A
	v_mul_f32_dpp v28, v154, v28 row_newbcast:8 row_mask:0xf bank_mask:0xf// 00000000E2A0: 0A3838FA FF01589A
	v_mul_f32_dpp v29, v154, v29 row_newbcast:9 row_mask:0xf bank_mask:0xf// 00000000E2A8: 0A3A3AFA FF01599A
	v_mul_f32_dpp v30, v154, v30 row_newbcast:10 row_mask:0xf bank_mask:0xf// 00000000E2B0: 0A3C3CFA FF015A9A
	v_mul_f32_dpp v31, v154, v31 row_newbcast:11 row_mask:0xf bank_mask:0xf// 00000000E2B8: 0A3E3EFA FF015B9A
	v_mul_f32_dpp v32, v154, v32 row_newbcast:12 row_mask:0xf bank_mask:0xf// 00000000E2C0: 0A4040FA FF015C9A
	v_mul_f32_dpp v33, v154, v33 row_newbcast:13 row_mask:0xf bank_mask:0xf// 00000000E2C8: 0A4242FA FF015D9A
	v_mul_f32_dpp v34, v154, v34 row_newbcast:14 row_mask:0xf bank_mask:0xf// 00000000E2D0: 0A4444FA FF015E9A
	v_mul_f32_dpp v35, v154, v35 row_newbcast:15 row_mask:0xf bank_mask:0xf// 00000000E2D8: 0A4646FA FF015F9A
	v_pk_mul_f32 v[36:37], v[152:153], v[36:37]                // 00000000E2E0: D3B14024 18024998
	v_pk_mul_f32 v[38:39], v[152:153], v[38:39]                // 00000000E2E8: D3B14026 18024D98
	v_pk_mul_f32 v[40:41], v[152:153], v[40:41]                // 00000000E2F0: D3B14028 18025198
	v_pk_mul_f32 v[42:43], v[152:153], v[42:43]                // 00000000E2F8: D3B1402A 18025598
	v_mul_f32_dpp v36, v164, v36 quad_perm:[0,0,0,0] row_mask:0xf bank_mask:0xf// 00000000E300: 0A4848FA FF0000A4
	v_mul_f32_dpp v37, v164, v37 quad_perm:[1,1,1,1] row_mask:0xf bank_mask:0xf// 00000000E308: 0A4A4AFA FF0055A4
	v_mul_f32_dpp v38, v164, v38 quad_perm:[2,2,2,2] row_mask:0xf bank_mask:0xf// 00000000E310: 0A4C4CFA FF00AAA4
	v_mul_f32_dpp v39, v164, v39 quad_perm:[3,3,3,3] row_mask:0xf bank_mask:0xf// 00000000E318: 0A4E4EFA FF00FFA4
	v_mul_f32_dpp v40, v165, v40 quad_perm:[0,0,0,0] row_mask:0xf bank_mask:0xf// 00000000E320: 0A5050FA FF0000A5
	v_mul_f32_dpp v41, v165, v41 quad_perm:[1,1,1,1] row_mask:0xf bank_mask:0xf// 00000000E328: 0A5252FA FF0055A5
	v_mul_f32_dpp v42, v165, v42 quad_perm:[2,2,2,2] row_mask:0xf bank_mask:0xf// 00000000E330: 0A5454FA FF00AAA5
	v_mul_f32_dpp v43, v165, v43 quad_perm:[3,3,3,3] row_mask:0xf bank_mask:0xf// 00000000E338: 0A5656FA FF00FFA5
	v_add_u32_e32 v168, s49, v222                              // 00000000E340: 6951BC31
	v_add_u32_e32 v169, 0, v168                                // 00000000E344: 69535080
	v_cmp_lt_u32_e64 s[84:85], v169, v219                      // 00000000E348: D0C90054 0003B7A9
	s_nop 0                                                    // 00000000E350: BF800000
	v_cndmask_b32_e64 v4, v225, v4, s[84:85]                   // 00000000E354: D1000004 015209E1
	v_add_u32_e32 v169, 1, v168                                // 00000000E35C: 69535081
	v_cmp_lt_u32_e64 s[84:85], v169, v219                      // 00000000E360: D0C90054 0003B7A9
	s_nop 0                                                    // 00000000E368: BF800000
	v_cndmask_b32_e64 v5, v225, v5, s[84:85]                   // 00000000E36C: D1000005 01520BE1
	v_add_u32_e32 v169, 2, v168                                // 00000000E374: 69535082
	v_cmp_lt_u32_e64 s[84:85], v169, v219                      // 00000000E378: D0C90054 0003B7A9
	s_nop 0                                                    // 00000000E380: BF800000
	v_cndmask_b32_e64 v6, v225, v6, s[84:85]                   // 00000000E384: D1000006 01520DE1
	v_add_u32_e32 v169, 3, v168                                // 00000000E38C: 69535083
	v_cmp_lt_u32_e64 s[84:85], v169, v219                      // 00000000E390: D0C90054 0003B7A9
	s_nop 0                                                    // 00000000E398: BF800000
	v_cndmask_b32_e64 v7, v225, v7, s[84:85]                   // 00000000E39C: D1000007 01520FE1
	v_add_u32_e32 v169, 64, v168                               // 00000000E3A4: 695350C0
	v_cmp_lt_u32_e64 s[84:85], v169, v219                      // 00000000E3A8: D0C90054 0003B7A9
	s_nop 0                                                    // 00000000E3B0: BF800000
	v_cndmask_b32_e64 v8, v225, v8, s[84:85]                   // 00000000E3B4: D1000008 015211E1
	v_add_u32_e32 v169, 0x41, v168                             // 00000000E3BC: 695350FF 00000041
	v_cmp_lt_u32_e64 s[84:85], v169, v219                      // 00000000E3C4: D0C90054 0003B7A9
	s_nop 0                                                    // 00000000E3CC: BF800000
	v_cndmask_b32_e64 v9, v225, v9, s[84:85]                   // 00000000E3D0: D1000009 015213E1
	v_add_u32_e32 v169, 0x42, v168                             // 00000000E3D8: 695350FF 00000042
	v_cmp_lt_u32_e64 s[84:85], v169, v219                      // 00000000E3E0: D0C90054 0003B7A9
	s_nop 0                                                    // 00000000E3E8: BF800000
	v_cndmask_b32_e64 v10, v225, v10, s[84:85]                 // 00000000E3EC: D100000A 015215E1
	v_add_u32_e32 v169, 0x43, v168                             // 00000000E3F4: 695350FF 00000043
	v_cmp_lt_u32_e64 s[84:85], v169, v219                      // 00000000E3FC: D0C90054 0003B7A9
	s_nop 0                                                    // 00000000E404: BF800000
	v_cndmask_b32_e64 v11, v225, v11, s[84:85]                 // 00000000E408: D100000B 015217E1
	v_add_u32_e32 v169, 0x80, v168                             // 00000000E410: 695350FF 00000080
	v_cmp_lt_u32_e64 s[84:85], v169, v219                      // 00000000E418: D0C90054 0003B7A9
	s_nop 0                                                    // 00000000E420: BF800000
	v_cndmask_b32_e64 v12, v225, v12, s[84:85]                 // 00000000E424: D100000C 015219E1
	v_add_u32_e32 v169, 0x81, v168                             // 00000000E42C: 695350FF 00000081
	v_cmp_lt_u32_e64 s[84:85], v169, v219                      // 00000000E434: D0C90054 0003B7A9
	s_nop 0                                                    // 00000000E43C: BF800000
	v_cndmask_b32_e64 v13, v225, v13, s[84:85]                 // 00000000E440: D100000D 01521BE1
	v_add_u32_e32 v169, 0x82, v168                             // 00000000E448: 695350FF 00000082
	v_cmp_lt_u32_e64 s[84:85], v169, v219                      // 00000000E450: D0C90054 0003B7A9
	s_nop 0                                                    // 00000000E458: BF800000
	v_cndmask_b32_e64 v14, v225, v14, s[84:85]                 // 00000000E45C: D100000E 01521DE1
	v_add_u32_e32 v169, 0x83, v168                             // 00000000E464: 695350FF 00000083
	v_cmp_lt_u32_e64 s[84:85], v169, v219                      // 00000000E46C: D0C90054 0003B7A9
	s_nop 0                                                    // 00000000E474: BF800000
	v_cndmask_b32_e64 v15, v225, v15, s[84:85]                 // 00000000E478: D100000F 01521FE1
	v_add_u32_e32 v169, 0xc0, v168                             // 00000000E480: 695350FF 000000C0
	v_cmp_lt_u32_e64 s[84:85], v169, v219                      // 00000000E488: D0C90054 0003B7A9
	s_nop 0                                                    // 00000000E490: BF800000
	v_cndmask_b32_e64 v16, v225, v16, s[84:85]                 // 00000000E494: D1000010 015221E1
	v_add_u32_e32 v169, 0xc1, v168                             // 00000000E49C: 695350FF 000000C1
	v_cmp_lt_u32_e64 s[84:85], v169, v219                      // 00000000E4A4: D0C90054 0003B7A9
	s_nop 0                                                    // 00000000E4AC: BF800000
	v_cndmask_b32_e64 v17, v225, v17, s[84:85]                 // 00000000E4B0: D1000011 015223E1
	v_add_u32_e32 v169, 0xc2, v168                             // 00000000E4B8: 695350FF 000000C2
	v_cmp_lt_u32_e64 s[84:85], v169, v219                      // 00000000E4C0: D0C90054 0003B7A9
	s_nop 0                                                    // 00000000E4C8: BF800000
	v_cndmask_b32_e64 v18, v225, v18, s[84:85]                 // 00000000E4CC: D1000012 015225E1
	v_add_u32_e32 v169, 0xc3, v168                             // 00000000E4D4: 695350FF 000000C3
	v_cmp_lt_u32_e64 s[84:85], v169, v219                      // 00000000E4DC: D0C90054 0003B7A9
	s_nop 0                                                    // 00000000E4E4: BF800000
	v_cndmask_b32_e64 v19, v225, v19, s[84:85]                 // 00000000E4E8: D1000013 015227E1
	v_add_u32_e32 v169, 0, v168                                // 00000000E4F0: 69535080
	v_cmp_lt_u32_e64 s[84:85], v169, v220                      // 00000000E4F4: D0C90054 0003B9A9
	s_nop 0                                                    // 00000000E4FC: BF800000
	v_cndmask_b32_e64 v20, v225, v20, s[84:85]                 // 00000000E500: D1000014 015229E1
	v_add_u32_e32 v169, 1, v168                                // 00000000E508: 69535081
	v_cmp_lt_u32_e64 s[84:85], v169, v220                      // 00000000E50C: D0C90054 0003B9A9
	s_nop 0                                                    // 00000000E514: BF800000
	v_cndmask_b32_e64 v21, v225, v21, s[84:85]                 // 00000000E518: D1000015 01522BE1
	v_add_u32_e32 v169, 2, v168                                // 00000000E520: 69535082
	v_cmp_lt_u32_e64 s[84:85], v169, v220                      // 00000000E524: D0C90054 0003B9A9
	s_nop 0                                                    // 00000000E52C: BF800000
	v_cndmask_b32_e64 v22, v225, v22, s[84:85]                 // 00000000E530: D1000016 01522DE1
	v_add_u32_e32 v169, 3, v168                                // 00000000E538: 69535083
	v_cmp_lt_u32_e64 s[84:85], v169, v220                      // 00000000E53C: D0C90054 0003B9A9
	s_nop 0                                                    // 00000000E544: BF800000
	v_cndmask_b32_e64 v23, v225, v23, s[84:85]                 // 00000000E548: D1000017 01522FE1
	v_add_u32_e32 v169, 64, v168                               // 00000000E550: 695350C0
	v_cmp_lt_u32_e64 s[84:85], v169, v220                      // 00000000E554: D0C90054 0003B9A9
	s_nop 0                                                    // 00000000E55C: BF800000
	v_cndmask_b32_e64 v24, v225, v24, s[84:85]                 // 00000000E560: D1000018 015231E1
	v_add_u32_e32 v169, 0x41, v168                             // 00000000E568: 695350FF 00000041
	v_cmp_lt_u32_e64 s[84:85], v169, v220                      // 00000000E570: D0C90054 0003B9A9
	s_nop 0                                                    // 00000000E578: BF800000
	v_cndmask_b32_e64 v25, v225, v25, s[84:85]                 // 00000000E57C: D1000019 015233E1
	v_add_u32_e32 v169, 0x42, v168                             // 00000000E584: 695350FF 00000042
	v_cmp_lt_u32_e64 s[84:85], v169, v220                      // 00000000E58C: D0C90054 0003B9A9
	s_nop 0                                                    // 00000000E594: BF800000
	v_cndmask_b32_e64 v26, v225, v26, s[84:85]                 // 00000000E598: D100001A 015235E1
	v_add_u32_e32 v169, 0x43, v168                             // 00000000E5A0: 695350FF 00000043
	v_cmp_lt_u32_e64 s[84:85], v169, v220                      // 00000000E5A8: D0C90054 0003B9A9
	s_nop 0                                                    // 00000000E5B0: BF800000
	v_cndmask_b32_e64 v27, v225, v27, s[84:85]                 // 00000000E5B4: D100001B 015237E1
	v_add_u32_e32 v169, 0x80, v168                             // 00000000E5BC: 695350FF 00000080
	v_cmp_lt_u32_e64 s[84:85], v169, v220                      // 00000000E5C4: D0C90054 0003B9A9
	s_nop 0                                                    // 00000000E5CC: BF800000
	v_cndmask_b32_e64 v28, v225, v28, s[84:85]                 // 00000000E5D0: D100001C 015239E1
	v_add_u32_e32 v169, 0x81, v168                             // 00000000E5D8: 695350FF 00000081
	v_cmp_lt_u32_e64 s[84:85], v169, v220                      // 00000000E5E0: D0C90054 0003B9A9
	s_nop 0                                                    // 00000000E5E8: BF800000
	v_cndmask_b32_e64 v29, v225, v29, s[84:85]                 // 00000000E5EC: D100001D 01523BE1
	v_add_u32_e32 v169, 0x82, v168                             // 00000000E5F4: 695350FF 00000082
	v_cmp_lt_u32_e64 s[84:85], v169, v220                      // 00000000E5FC: D0C90054 0003B9A9
	s_nop 0                                                    // 00000000E604: BF800000
	v_cndmask_b32_e64 v30, v225, v30, s[84:85]                 // 00000000E608: D100001E 01523DE1
	v_add_u32_e32 v169, 0x83, v168                             // 00000000E610: 695350FF 00000083
	v_cmp_lt_u32_e64 s[84:85], v169, v220                      // 00000000E618: D0C90054 0003B9A9
	s_nop 0                                                    // 00000000E620: BF800000
	v_cndmask_b32_e64 v31, v225, v31, s[84:85]                 // 00000000E624: D100001F 01523FE1
	v_add_u32_e32 v169, 0xc0, v168                             // 00000000E62C: 695350FF 000000C0
	v_cmp_lt_u32_e64 s[84:85], v169, v220                      // 00000000E634: D0C90054 0003B9A9
	s_nop 0                                                    // 00000000E63C: BF800000
	v_cndmask_b32_e64 v32, v225, v32, s[84:85]                 // 00000000E640: D1000020 015241E1
	v_add_u32_e32 v169, 0xc1, v168                             // 00000000E648: 695350FF 000000C1
	v_cmp_lt_u32_e64 s[84:85], v169, v220                      // 00000000E650: D0C90054 0003B9A9
	s_nop 0                                                    // 00000000E658: BF800000
	v_cndmask_b32_e64 v33, v225, v33, s[84:85]                 // 00000000E65C: D1000021 015243E1
	v_add_u32_e32 v169, 0xc2, v168                             // 00000000E664: 695350FF 000000C2
	v_cmp_lt_u32_e64 s[84:85], v169, v220                      // 00000000E66C: D0C90054 0003B9A9
	s_nop 0                                                    // 00000000E674: BF800000
	v_cndmask_b32_e64 v34, v225, v34, s[84:85]                 // 00000000E678: D1000022 015245E1
	v_add_u32_e32 v169, 0xc3, v168                             // 00000000E680: 695350FF 000000C3
	v_cmp_lt_u32_e64 s[84:85], v169, v220                      // 00000000E688: D0C90054 0003B9A9
	s_nop 0                                                    // 00000000E690: BF800000
	v_cndmask_b32_e64 v35, v225, v35, s[84:85]                 // 00000000E694: D1000023 015247E1
	v_add_u32_e32 v168, s49, v223                              // 00000000E69C: 6951BE31
	v_add_u32_e32 v169, 0, v168                                // 00000000E6A0: 69535080
	v_cmp_lt_u32_e64 s[84:85], v169, v221                      // 00000000E6A4: D0C90054 0003BBA9
	s_nop 0                                                    // 00000000E6AC: BF800000
	v_cndmask_b32_e64 v36, v225, v36, s[84:85]                 // 00000000E6B0: D1000024 015249E1
	v_add_u32_e32 v169, 1, v168                                // 00000000E6B8: 69535081
	v_cmp_lt_u32_e64 s[84:85], v169, v221                      // 00000000E6BC: D0C90054 0003BBA9
	s_nop 0                                                    // 00000000E6C4: BF800000
	v_cndmask_b32_e64 v37, v225, v37, s[84:85]                 // 00000000E6C8: D1000025 01524BE1
	v_add_u32_e32 v169, 2, v168                                // 00000000E6D0: 69535082
	v_cmp_lt_u32_e64 s[84:85], v169, v221                      // 00000000E6D4: D0C90054 0003BBA9
	s_nop 0                                                    // 00000000E6DC: BF800000
	v_cndmask_b32_e64 v38, v225, v38, s[84:85]                 // 00000000E6E0: D1000026 01524DE1
	v_add_u32_e32 v169, 3, v168                                // 00000000E6E8: 69535083
	v_cmp_lt_u32_e64 s[84:85], v169, v221                      // 00000000E6EC: D0C90054 0003BBA9
	s_nop 0                                                    // 00000000E6F4: BF800000
	v_cndmask_b32_e64 v39, v225, v39, s[84:85]                 // 00000000E6F8: D1000027 01524FE1
	v_add_u32_e32 v169, 64, v168                               // 00000000E700: 695350C0
	v_cmp_lt_u32_e64 s[84:85], v169, v221                      // 00000000E704: D0C90054 0003BBA9
	s_nop 0                                                    // 00000000E70C: BF800000
	v_cndmask_b32_e64 v40, v225, v40, s[84:85]                 // 00000000E710: D1000028 015251E1
	v_add_u32_e32 v169, 0x41, v168                             // 00000000E718: 695350FF 00000041
	v_cmp_lt_u32_e64 s[84:85], v169, v221                      // 00000000E720: D0C90054 0003BBA9
	s_nop 0                                                    // 00000000E728: BF800000
	v_cndmask_b32_e64 v41, v225, v41, s[84:85]                 // 00000000E72C: D1000029 015253E1
	v_add_u32_e32 v169, 0x42, v168                             // 00000000E734: 695350FF 00000042
	v_cmp_lt_u32_e64 s[84:85], v169, v221                      // 00000000E73C: D0C90054 0003BBA9
	s_nop 0                                                    // 00000000E744: BF800000
	v_cndmask_b32_e64 v42, v225, v42, s[84:85]                 // 00000000E748: D100002A 015255E1
	v_add_u32_e32 v169, 0x43, v168                             // 00000000E750: 695350FF 00000043
	v_cmp_lt_u32_e64 s[84:85], v169, v221                      // 00000000E758: D0C90054 0003BBA9
	s_nop 0                                                    // 00000000E760: BF800000
	v_cndmask_b32_e64 v43, v225, v43, s[84:85]                 // 00000000E764: D100002B 015257E1
	v_mov_b32_e32 v190, v36                                    // 00000000E76C: 7F7C0324
	v_max3_f32 v190, v36, v37, v190                            // 00000000E770: D1D300BE 06FA4B24
	v_max3_f32 v190, v38, v39, v190                            // 00000000E778: D1D300BE 06FA4F26
	v_max3_f32 v190, v40, v41, v190                            // 00000000E780: D1D300BE 06FA5328
	v_max3_f32 v190, v42, v43, v190                            // 00000000E788: D1D300BE 06FA572A
	v_mov_b32_e32 v189, v20                                    // 00000000E790: 7F7A0314
	v_max3_f32 v189, v20, v21, v189                            // 00000000E794: D1D300BD 06F62B14
	v_max3_f32 v189, v22, v23, v189                            // 00000000E79C: D1D300BD 06F62F16
	v_max3_f32 v189, v24, v25, v189                            // 00000000E7A4: D1D300BD 06F63318
	v_max3_f32 v189, v26, v27, v189                            // 00000000E7AC: D1D300BD 06F6371A
	v_max3_f32 v189, v28, v29, v189                            // 00000000E7B4: D1D300BD 06F63B1C
	v_max3_f32 v189, v30, v31, v189                            // 00000000E7BC: D1D300BD 06F63F1E
	v_max3_f32 v189, v32, v33, v189                            // 00000000E7C4: D1D300BD 06F64320
	v_max3_f32 v189, v34, v35, v189                            // 00000000E7CC: D1D300BD 06F64722
	v_mov_b32_e32 v188, v4                                     // 00000000E7D4: 7F780304
	v_max3_f32 v188, v4, v5, v188                              // 00000000E7D8: D1D300BC 06F20B04
	v_max3_f32 v188, v6, v7, v188                              // 00000000E7E0: D1D300BC 06F20F06
	v_max3_f32 v188, v8, v9, v188                              // 00000000E7E8: D1D300BC 06F21308
	v_max3_f32 v188, v10, v11, v188                            // 00000000E7F0: D1D300BC 06F2170A
	v_max3_f32 v188, v12, v13, v188                            // 00000000E7F8: D1D300BC 06F21B0C
	v_max3_f32 v188, v14, v15, v188                            // 00000000E800: D1D300BC 06F21F0E
	v_max3_f32 v188, v16, v17, v188                            // 00000000E808: D1D300BC 06F22310
	v_max3_f32 v188, v18, v19, v188                            // 00000000E810: D1D300BC 06F22712
	v_max_f32_dpp v190, v190, v190 row_ror:8 row_mask:0xf bank_mask:0xf// 00000000E818: 177D7CFA FF0128BE
	ds_bpermute_b32 v172, v212, v188                           // 00000000E820: D87E0000 AC00BCD4
	ds_bpermute_b32 v173, v213, v188                           // 00000000E828: D87E0000 AD00BCD5
	ds_bpermute_b32 v174, v214, v188                           // 00000000E830: D87E0000 AE00BCD6
	ds_bpermute_b32 v175, v212, v189                           // 00000000E838: D87E0000 AF00BDD4
	ds_bpermute_b32 v176, v213, v189                           // 00000000E840: D87E0000 B000BDD5
	ds_bpermute_b32 v177, v214, v189                           // 00000000E848: D87E0000 B100BDD6
	ds_bpermute_b32 v178, v212, v190                           // 00000000E850: D87E0000 B200BED4
	ds_bpermute_b32 v179, v213, v190                           // 00000000E858: D87E0000 B300BED5
	ds_bpermute_b32 v180, v214, v190                           // 00000000E860: D87E0000 B400BED6
	v_pk_mul_f32 v[124:125], v[200:201], v[124:125]            // 00000000E868: D3B1407C 1802F9C8
	v_pk_mul_f32 v[126:127], v[200:201], v[126:127]            // 00000000E870: D3B1407E 1802FDC8
	v_pk_mul_f32 v[128:129], v[200:201], v[128:129]            // 00000000E878: D3B14080 180301C8
	v_pk_mul_f32 v[130:131], v[200:201], v[130:131]            // 00000000E880: D3B14082 180305C8
	v_pk_mul_f32 v[132:133], v[202:203], v[132:133]            // 00000000E888: D3B14084 180309CA
	v_pk_mul_f32 v[134:135], v[202:203], v[134:135]            // 00000000E890: D3B14086 18030DCA
	v_pk_mul_f32 v[136:137], v[202:203], v[136:137]            // 00000000E898: D3B14088 180311CA
	v_pk_mul_f32 v[138:139], v[202:203], v[138:139]            // 00000000E8A0: D3B1408A 180315CA
	v_pk_mul_f32 v[140:141], v[204:205], v[140:141]            // 00000000E8A8: D3B1408C 180319CC
	v_pk_mul_f32 v[142:143], v[204:205], v[142:143]            // 00000000E8B0: D3B1408E 18031DCC
	v_pk_mul_f32 v[144:145], v[204:205], v[144:145]            // 00000000E8B8: D3B14090 180321CC
	v_pk_mul_f32 v[146:147], v[204:205], v[146:147]            // 00000000E8C0: D3B14092 180325CC
	s_waitcnt lgkmcnt(6)                                       // 00000000E8C8: BF8CC67F
	v_max3_f32 v188, v172, v173, v188                          // 00000000E8CC: D1D300BC 06F35BAC
	v_max_f32_e32 v188, v174, v188                             // 00000000E8D4: 177979AE
	s_waitcnt lgkmcnt(3)                                       // 00000000E8D8: BF8CC37F
	v_max3_f32 v189, v175, v176, v189                          // 00000000E8DC: D1D300BD 06F761AF
	v_max_f32_e32 v189, v177, v189                             // 00000000E8E4: 177B7BB1
	s_waitcnt lgkmcnt(0)                                       // 00000000E8E8: BF8CC07F
	v_max3_f32 v190, v178, v179, v190                          // 00000000E8EC: D1D300BE 06FB67B2
	v_max_f32_e32 v190, v180, v190                             // 00000000E8F4: 177D7DB4
	ds_write_b128 v246, v[188:191]                             // 00000000E8F8: D9BE0000 0000BCF6
	s_waitcnt lgkmcnt(0)                                       // 00000000E900: BF8CC07F
	s_barrier                                                  // 00000000E904: BF8A0000
	ds_read_b128 v[172:175], v247                              // 00000000E908: D9FE0000 AC0000F7
	ds_read_b128 v[176:179], v247 offset:256                   // 00000000E910: D9FE0100 B00000F7
	ds_read_b128 v[180:183], v247 offset:512                   // 00000000E918: D9FE0200 B40000F7
	ds_read_b128 v[184:187], v247 offset:768                   // 00000000E920: D9FE0300 B80000F7
	v_pk_mul_f32 v[100:101], v[158:159], v[100:101]            // 00000000E928: D3B14064 1802C99E
	v_pk_mul_f32 v[102:103], v[158:159], v[102:103]            // 00000000E930: D3B14066 1802CD9E
	v_pk_mul_f32 v[104:105], v[158:159], v[104:105]            // 00000000E938: D3B14068 1802D19E
	v_pk_mul_f32 v[106:107], v[158:159], v[106:107]            // 00000000E940: D3B1406A 1802D59E
	v_pk_mul_f32 v[108:109], v[160:161], v[108:109]            // 00000000E948: D3B1406C 1802D9A0
	v_pk_mul_f32 v[110:111], v[160:161], v[110:111]            // 00000000E950: D3B1406E 1802DDA0
	v_pk_mul_f32 v[112:113], v[160:161], v[112:113]            // 00000000E958: D3B14070 1802E1A0
	v_pk_mul_f32 v[114:115], v[160:161], v[114:115]            // 00000000E960: D3B14072 1802E5A0
	v_pk_mul_f32 v[116:117], v[162:163], v[116:117]            // 00000000E968: D3B14074 1802E9A2
	v_pk_mul_f32 v[118:119], v[162:163], v[118:119]            // 00000000E970: D3B14076 1802EDA2
	v_pk_mul_f32 v[120:121], v[162:163], v[120:121]            // 00000000E978: D3B14078 1802F1A2
	v_pk_mul_f32 v[122:123], v[162:163], v[122:123]            // 00000000E980: D3B1407A 1802F5A2
	s_waitcnt lgkmcnt(0)                                       // 00000000E988: BF8CC07F
	v_max3_f32 v188, v172, v176, v188                          // 00000000E98C: D1D300BC 06F361AC
	v_max3_f32 v189, v173, v177, v189                          // 00000000E994: D1D300BD 06F763AD
	v_max3_f32 v190, v174, v178, v190                          // 00000000E99C: D1D300BE 06FB65AE
	v_max3_f32 v188, v180, v184, v188                          // 00000000E9A4: D1D300BC 06F371B4
	v_max3_f32 v189, v181, v185, v189                          // 00000000E9AC: D1D300BD 06F773B5
	v_max3_f32 v190, v182, v186, v190                          // 00000000E9B4: D1D300BE 06FB75B6
	v_max_f32_e32 v197, v188, v194                             // 00000000E9BC: 178B85BC
	v_mul_f32_e64 v168, -s51, v197                             // 00000000E9C0: D10500A8 20038A33
	v_mov_b32_e32 v169, v168                                   // 00000000E9C8: 7F5203A8
	v_pk_fma_f32 v[4:5], v[4:5], s[86:87], v[168:169]          // 00000000E9CC: D3B04004 1EA0AD04
	v_pk_fma_f32 v[6:7], v[6:7], s[86:87], v[168:169]          // 00000000E9D4: D3B04006 1EA0AD06
	v_exp_f32_e32 v4, v4                                       // 00000000E9DC: 7E084104
	v_exp_f32_e32 v5, v5                                       // 00000000E9E0: 7E0A4105
	v_exp_f32_e32 v6, v6                                       // 00000000E9E4: 7E0C4106
	v_exp_f32_e32 v7, v7                                       // 00000000E9E8: 7E0E4107
	v_pk_fma_f32 v[8:9], v[8:9], s[86:87], v[168:169]          // 00000000E9EC: D3B04008 1EA0AD08
	v_pk_fma_f32 v[10:11], v[10:11], s[86:87], v[168:169]      // 00000000E9F4: D3B0400A 1EA0AD0A
	v_exp_f32_e32 v8, v8                                       // 00000000E9FC: 7E104108
	v_exp_f32_e32 v9, v9                                       // 00000000EA00: 7E124109
	v_exp_f32_e32 v10, v10                                     // 00000000EA04: 7E14410A
	v_exp_f32_e32 v11, v11                                     // 00000000EA08: 7E16410B
	v_pk_fma_f32 v[12:13], v[12:13], s[86:87], v[168:169]      // 00000000EA0C: D3B0400C 1EA0AD0C
	v_pk_fma_f32 v[14:15], v[14:15], s[86:87], v[168:169]      // 00000000EA14: D3B0400E 1EA0AD0E
	v_exp_f32_e32 v12, v12                                     // 00000000EA1C: 7E18410C
	v_exp_f32_e32 v13, v13                                     // 00000000EA20: 7E1A410D
	v_exp_f32_e32 v14, v14                                     // 00000000EA24: 7E1C410E
	v_exp_f32_e32 v15, v15                                     // 00000000EA28: 7E1E410F
	v_pk_fma_f32 v[16:17], v[16:17], s[86:87], v[168:169]      // 00000000EA2C: D3B04010 1EA0AD10
	v_pk_fma_f32 v[18:19], v[18:19], s[86:87], v[168:169]      // 00000000EA34: D3B04012 1EA0AD12
	v_exp_f32_e32 v16, v16                                     // 00000000EA3C: 7E204110
	v_exp_f32_e32 v17, v17                                     // 00000000EA40: 7E224111
	v_exp_f32_e32 v18, v18                                     // 00000000EA44: 7E244112
	v_exp_f32_e32 v19, v19                                     // 00000000EA48: 7E264113
	v_max_f32_e32 v198, v189, v195                             // 00000000EA4C: 178D87BD
	v_mul_f32_e64 v168, -s51, v198                             // 00000000EA50: D10500A8 20038C33
	v_mov_b32_e32 v169, v168                                   // 00000000EA58: 7F5203A8
	v_pk_fma_f32 v[20:21], v[20:21], s[86:87], v[168:169]      // 00000000EA5C: D3B04014 1EA0AD14
	v_pk_fma_f32 v[22:23], v[22:23], s[86:87], v[168:169]      // 00000000EA64: D3B04016 1EA0AD16
	v_exp_f32_e32 v20, v20                                     // 00000000EA6C: 7E284114
	v_exp_f32_e32 v21, v21                                     // 00000000EA70: 7E2A4115
	v_exp_f32_e32 v22, v22                                     // 00000000EA74: 7E2C4116
	v_exp_f32_e32 v23, v23                                     // 00000000EA78: 7E2E4117
	v_pk_fma_f32 v[24:25], v[24:25], s[86:87], v[168:169]      // 00000000EA7C: D3B04018 1EA0AD18
	v_pk_fma_f32 v[26:27], v[26:27], s[86:87], v[168:169]      // 00000000EA84: D3B0401A 1EA0AD1A
	v_exp_f32_e32 v24, v24                                     // 00000000EA8C: 7E304118
	v_exp_f32_e32 v25, v25                                     // 00000000EA90: 7E324119
	v_exp_f32_e32 v26, v26                                     // 00000000EA94: 7E34411A
	v_exp_f32_e32 v27, v27                                     // 00000000EA98: 7E36411B
	v_pk_fma_f32 v[28:29], v[28:29], s[86:87], v[168:169]      // 00000000EA9C: D3B0401C 1EA0AD1C
	v_pk_fma_f32 v[30:31], v[30:31], s[86:87], v[168:169]      // 00000000EAA4: D3B0401E 1EA0AD1E
	v_exp_f32_e32 v28, v28                                     // 00000000EAAC: 7E38411C
	v_exp_f32_e32 v29, v29                                     // 00000000EAB0: 7E3A411D
	v_exp_f32_e32 v30, v30                                     // 00000000EAB4: 7E3C411E
	v_exp_f32_e32 v31, v31                                     // 00000000EAB8: 7E3E411F
	v_pk_fma_f32 v[32:33], v[32:33], s[86:87], v[168:169]      // 00000000EABC: D3B04020 1EA0AD20
	v_pk_fma_f32 v[34:35], v[34:35], s[86:87], v[168:169]      // 00000000EAC4: D3B04022 1EA0AD22
	v_exp_f32_e32 v32, v32                                     // 00000000EACC: 7E404120
	v_exp_f32_e32 v33, v33                                     // 00000000EAD0: 7E424121
	v_exp_f32_e32 v34, v34                                     // 00000000EAD4: 7E444122
	v_exp_f32_e32 v35, v35                                     // 00000000EAD8: 7E464123
	v_max_f32_e32 v199, v190, v196                             // 00000000EADC: 178F89BE
	v_mul_f32_e64 v168, -s51, v199                             // 00000000EAE0: D10500A8 20038E33
	v_mov_b32_e32 v169, v168                                   // 00000000EAE8: 7F5203A8
	v_pk_fma_f32 v[36:37], v[36:37], s[86:87], v[168:169]      // 00000000EAEC: D3B04024 1EA0AD24
	v_pk_fma_f32 v[38:39], v[38:39], s[86:87], v[168:169]      // 00000000EAF4: D3B04026 1EA0AD26
	v_exp_f32_e32 v36, v36                                     // 00000000EAFC: 7E484124
	v_exp_f32_e32 v37, v37                                     // 00000000EB00: 7E4A4125
	v_exp_f32_e32 v38, v38                                     // 00000000EB04: 7E4C4126
	v_exp_f32_e32 v39, v39                                     // 00000000EB08: 7E4E4127
	v_pk_fma_f32 v[40:41], v[40:41], s[86:87], v[168:169]      // 00000000EB0C: D3B04028 1EA0AD28
	v_pk_fma_f32 v[42:43], v[42:43], s[86:87], v[168:169]      // 00000000EB14: D3B0402A 1EA0AD2A
	v_exp_f32_e32 v40, v40                                     // 00000000EB1C: 7E504128
	v_exp_f32_e32 v41, v41                                     // 00000000EB20: 7E524129
	v_exp_f32_e32 v42, v42                                     // 00000000EB24: 7E54412A
	v_exp_f32_e32 v43, v43                                     // 00000000EB28: 7E56412B
	v_mul_f32_dpp v52, v156, v4 row_newbcast:0 row_mask:0xf bank_mask:0xf// 00000000EB2C: 0A6808FA FF01509C
	v_mul_f32_dpp v53, v156, v5 row_newbcast:1 row_mask:0xf bank_mask:0xf// 00000000EB34: 0A6A0AFA FF01519C
	v_mul_f32_dpp v54, v156, v6 row_newbcast:2 row_mask:0xf bank_mask:0xf// 00000000EB3C: 0A6C0CFA FF01529C
	v_mul_f32_dpp v55, v156, v7 row_newbcast:3 row_mask:0xf bank_mask:0xf// 00000000EB44: 0A6E0EFA FF01539C
	v_mul_f32_dpp v56, v156, v8 row_newbcast:4 row_mask:0xf bank_mask:0xf// 00000000EB4C: 0A7010FA FF01549C
	v_mul_f32_dpp v57, v156, v9 row_newbcast:5 row_mask:0xf bank_mask:0xf// 00000000EB54: 0A7212FA FF01559C
	v_mul_f32_dpp v58, v156, v10 row_newbcast:6 row_mask:0xf bank_mask:0xf// 00000000EB5C: 0A7414FA FF01569C
	v_mul_f32_dpp v59, v156, v11 row_newbcast:7 row_mask:0xf bank_mask:0xf// 00000000EB64: 0A7616FA FF01579C
	v_mul_f32_dpp v60, v156, v12 row_newbcast:8 row_mask:0xf bank_mask:0xf// 00000000EB6C: 0A7818FA FF01589C
	v_mul_f32_dpp v61, v156, v13 row_newbcast:9 row_mask:0xf bank_mask:0xf// 00000000EB74: 0A7A1AFA FF01599C
	v_mul_f32_dpp v62, v156, v14 row_newbcast:10 row_mask:0xf bank_mask:0xf// 00000000EB7C: 0A7C1CFA FF015A9C
	v_mul_f32_dpp v63, v156, v15 row_newbcast:11 row_mask:0xf bank_mask:0xf// 00000000EB84: 0A7E1EFA FF015B9C
	v_mul_f32_dpp v64, v156, v16 row_newbcast:12 row_mask:0xf bank_mask:0xf// 00000000EB8C: 0A8020FA FF015C9C
	v_mul_f32_dpp v65, v156, v17 row_newbcast:13 row_mask:0xf bank_mask:0xf// 00000000EB94: 0A8222FA FF015D9C
	v_mul_f32_dpp v66, v156, v18 row_newbcast:14 row_mask:0xf bank_mask:0xf// 00000000EB9C: 0A8424FA FF015E9C
	v_mul_f32_dpp v67, v156, v19 row_newbcast:15 row_mask:0xf bank_mask:0xf// 00000000EBA4: 0A8626FA FF015F9C
	v_mul_f32_dpp v68, v156, v20 row_newbcast:0 row_mask:0xf bank_mask:0xf// 00000000EBAC: 0A8828FA FF01509C
	v_mul_f32_dpp v69, v156, v21 row_newbcast:1 row_mask:0xf bank_mask:0xf// 00000000EBB4: 0A8A2AFA FF01519C
	v_mul_f32_dpp v70, v156, v22 row_newbcast:2 row_mask:0xf bank_mask:0xf// 00000000EBBC: 0A8C2CFA FF01529C
	v_mul_f32_dpp v71, v156, v23 row_newbcast:3 row_mask:0xf bank_mask:0xf// 00000000EBC4: 0A8E2EFA FF01539C
	v_mul_f32_dpp v72, v156, v24 row_newbcast:4 row_mask:0xf bank_mask:0xf// 00000000EBCC: 0A9030FA FF01549C
	v_mul_f32_dpp v73, v156, v25 row_newbcast:5 row_mask:0xf bank_mask:0xf// 00000000EBD4: 0A9232FA FF01559C
	v_mul_f32_dpp v74, v156, v26 row_newbcast:6 row_mask:0xf bank_mask:0xf// 00000000EBDC: 0A9434FA FF01569C
	v_mul_f32_dpp v75, v156, v27 row_newbcast:7 row_mask:0xf bank_mask:0xf// 00000000EBE4: 0A9636FA FF01579C
	v_mul_f32_dpp v76, v156, v28 row_newbcast:8 row_mask:0xf bank_mask:0xf// 00000000EBEC: 0A9838FA FF01589C
	v_mul_f32_dpp v77, v156, v29 row_newbcast:9 row_mask:0xf bank_mask:0xf// 00000000EBF4: 0A9A3AFA FF01599C
	v_mul_f32_dpp v78, v156, v30 row_newbcast:10 row_mask:0xf bank_mask:0xf// 00000000EBFC: 0A9C3CFA FF015A9C
	v_mul_f32_dpp v79, v156, v31 row_newbcast:11 row_mask:0xf bank_mask:0xf// 00000000EC04: 0A9E3EFA FF015B9C
	v_mul_f32_dpp v80, v156, v32 row_newbcast:12 row_mask:0xf bank_mask:0xf// 00000000EC0C: 0AA040FA FF015C9C
	v_mul_f32_dpp v81, v156, v33 row_newbcast:13 row_mask:0xf bank_mask:0xf// 00000000EC14: 0AA242FA FF015D9C
	v_mul_f32_dpp v82, v156, v34 row_newbcast:14 row_mask:0xf bank_mask:0xf// 00000000EC1C: 0AA444FA FF015E9C
	v_mul_f32_dpp v83, v156, v35 row_newbcast:15 row_mask:0xf bank_mask:0xf// 00000000EC24: 0AA646FA FF015F9C
	v_mul_f32_dpp v84, v166, v36 quad_perm:[0,0,0,0] row_mask:0xf bank_mask:0xf// 00000000EC2C: 0AA848FA FF0000A6
	v_mul_f32_dpp v85, v166, v37 quad_perm:[1,1,1,1] row_mask:0xf bank_mask:0xf// 00000000EC34: 0AAA4AFA FF0055A6
	v_mul_f32_dpp v86, v166, v38 quad_perm:[2,2,2,2] row_mask:0xf bank_mask:0xf// 00000000EC3C: 0AAC4CFA FF00AAA6
	v_mul_f32_dpp v87, v166, v39 quad_perm:[3,3,3,3] row_mask:0xf bank_mask:0xf// 00000000EC44: 0AAE4EFA FF00FFA6
	v_mul_f32_dpp v88, v167, v40 quad_perm:[0,0,0,0] row_mask:0xf bank_mask:0xf// 00000000EC4C: 0AB050FA FF0000A7
	v_mul_f32_dpp v89, v167, v41 quad_perm:[1,1,1,1] row_mask:0xf bank_mask:0xf// 00000000EC54: 0AB252FA FF0055A7
	v_mul_f32_dpp v90, v167, v42 quad_perm:[2,2,2,2] row_mask:0xf bank_mask:0xf// 00000000EC5C: 0AB454FA FF00AAA7
	v_mul_f32_dpp v91, v167, v43 quad_perm:[3,3,3,3] row_mask:0xf bank_mask:0xf// 00000000EC64: 0AB656FA FF00FFA7
	v_mov_b32_e32 v190, 0x358637bd                             // 00000000EC6C: 7F7C02FF 358637BD
	v_max3_f32 v190, |v84|, |v85|, v190                        // 00000000EC74: D1D303BE 06FAAB54
	v_max3_f32 v190, |v86|, |v87|, v190                        // 00000000EC7C: D1D303BE 06FAAF56
	v_max3_f32 v190, |v88|, |v89|, v190                        // 00000000EC84: D1D303BE 06FAB358
	v_max3_f32 v190, |v90|, |v91|, v190                        // 00000000EC8C: D1D303BE 06FAB75A
	v_mov_b32_e32 v189, 0x358637bd                             // 00000000EC94: 7F7A02FF 358637BD
	v_max3_f32 v189, |v68|, |v69|, v189                        // 00000000EC9C: D1D303BD 06F68B44
	v_max3_f32 v189, |v70|, |v71|, v189                        // 00000000ECA4: D1D303BD 06F68F46
	v_max3_f32 v189, |v72|, |v73|, v189                        // 00000000ECAC: D1D303BD 06F69348
	v_max3_f32 v189, |v74|, |v75|, v189                        // 00000000ECB4: D1D303BD 06F6974A
	v_max3_f32 v189, |v76|, |v77|, v189                        // 00000000ECBC: D1D303BD 06F69B4C
	v_max3_f32 v189, |v78|, |v79|, v189                        // 00000000ECC4: D1D303BD 06F69F4E
	v_max3_f32 v189, |v80|, |v81|, v189                        // 00000000ECCC: D1D303BD 06F6A350
	v_max3_f32 v189, |v82|, |v83|, v189                        // 00000000ECD4: D1D303BD 06F6A752
	v_mov_b32_e32 v188, 0x358637bd                             // 00000000ECDC: 7F7802FF 358637BD
	v_max3_f32 v188, |v52|, |v53|, v188                        // 00000000ECE4: D1D303BC 06F26B34
	v_max3_f32 v188, |v54|, |v55|, v188                        // 00000000ECEC: D1D303BC 06F26F36
	v_max3_f32 v188, |v56|, |v57|, v188                        // 00000000ECF4: D1D303BC 06F27338
	v_max3_f32 v188, |v58|, |v59|, v188                        // 00000000ECFC: D1D303BC 06F2773A
	v_max3_f32 v188, |v60|, |v61|, v188                        // 00000000ED04: D1D303BC 06F27B3C
	v_max3_f32 v188, |v62|, |v63|, v188                        // 00000000ED0C: D1D303BC 06F27F3E
	v_max3_f32 v188, |v64|, |v65|, v188                        // 00000000ED14: D1D303BC 06F28340
	v_max3_f32 v188, |v66|, |v67|, v188                        // 00000000ED1C: D1D303BC 06F28742
	v_max_f32_dpp v190, v190, v190 row_ror:8 row_mask:0xf bank_mask:0xf// 00000000ED24: 177D7CFA FF0128BE
	ds_bpermute_b32 v172, v212, v188                           // 00000000ED2C: D87E0000 AC00BCD4
	ds_bpermute_b32 v173, v213, v188                           // 00000000ED34: D87E0000 AD00BCD5
	ds_bpermute_b32 v174, v214, v188                           // 00000000ED3C: D87E0000 AE00BCD6
	ds_bpermute_b32 v175, v212, v189                           // 00000000ED44: D87E0000 AF00BDD4
	ds_bpermute_b32 v176, v213, v189                           // 00000000ED4C: D87E0000 B000BDD5
	ds_bpermute_b32 v177, v214, v189                           // 00000000ED54: D87E0000 B100BDD6
	ds_bpermute_b32 v178, v212, v190                           // 00000000ED5C: D87E0000 B200BED4
	ds_bpermute_b32 v179, v213, v190                           // 00000000ED64: D87E0000 B300BED5
	ds_bpermute_b32 v180, v214, v190                           // 00000000ED6C: D87E0000 B400BED6
	s_waitcnt lgkmcnt(6)                                       // 00000000ED74: BF8CC67F
	v_max3_f32 v188, v172, v173, v188                          // 00000000ED78: D1D300BC 06F35BAC
	v_max_f32_e32 v188, v174, v188                             // 00000000ED80: 177979AE
	s_waitcnt lgkmcnt(3)                                       // 00000000ED84: BF8CC37F
	v_max3_f32 v189, v175, v176, v189                          // 00000000ED88: D1D300BD 06F761AF
	v_max_f32_e32 v189, v177, v189                             // 00000000ED90: 177B7BB1
	s_waitcnt lgkmcnt(0)                                       // 00000000ED94: BF8CC07F
	v_max3_f32 v190, v178, v179, v190                          // 00000000ED98: D1D300BE 06FB67B2
	v_max_f32_e32 v190, v180, v190                             // 00000000EDA0: 177D7DB4
	ds_write_b128 v246, v[188:191] offset:4096                 // 00000000EDA4: D9BE1000 0000BCF6
	buffer_load_dword v155, v238, s[28:31], 0 offen            // 00000000EDAC: E0501000 80079BEE
	v_sub_f32_e32 v200, v194, v197                             // 00000000EDB4: 05918BC2
	v_cmp_eq_u32_e64 s[84:85], v225, v194                      // 00000000EDB8: D0CA0054 000385E1
	v_cndmask_b32_e64 v200, v200, 0, s[84:85]                  // 00000000EDC0: D10000C8 015101C8
	v_mov_b32_e32 v194, v197                                   // 00000000EDC8: 7F8403C5
	v_mul_f32_e32 v200, s51, v200                              // 00000000EDCC: 0B919033
	v_exp_f32_e32 v200, v200                                   // 00000000EDD0: 7F9041C8
	v_sub_f32_e32 v202, v195, v198                             // 00000000EDD4: 05958DC3
	v_cmp_eq_u32_e64 s[84:85], v225, v195                      // 00000000EDD8: D0CA0054 000387E1
	v_cndmask_b32_e64 v202, v202, 0, s[84:85]                  // 00000000EDE0: D10000CA 015101CA
	v_mov_b32_e32 v195, v198                                   // 00000000EDE8: 7F8603C6
	v_mul_f32_e32 v202, s51, v202                              // 00000000EDEC: 0B959433
	v_exp_f32_e32 v202, v202                                   // 00000000EDF0: 7F9441CA
	v_sub_f32_e32 v204, v196, v199                             // 00000000EDF4: 05998FC4
	v_cmp_eq_u32_e64 s[84:85], v225, v196                      // 00000000EDF8: D0CA0054 000389E1
	v_cndmask_b32_e64 v204, v204, 0, s[84:85]                  // 00000000EE00: D10000CC 015101CC
	v_mov_b32_e32 v196, v199                                   // 00000000EE08: 7F8803C7
	v_mul_f32_e32 v204, s51, v204                              // 00000000EE0C: 0B999833
	v_exp_f32_e32 v204, v204                                   // 00000000EE10: 7F9841CC
	v_mov_b32_e32 v201, v200                                   // 00000000EE14: 7F9203C8
	v_mov_b32_e32 v203, v202                                   // 00000000EE18: 7F9603CA
	v_mov_b32_e32 v205, v204                                   // 00000000EE1C: 7F9A03CC
	s_waitcnt lgkmcnt(0)                                       // 00000000EE20: BF8CC07F
	s_barrier                                                  // 00000000EE24: BF8A0000
	ds_read_b128 v[172:175], v247 offset:4096                  // 00000000EE28: D9FE1000 AC0000F7
	ds_read_b128 v[176:179], v247 offset:4352                  // 00000000EE30: D9FE1100 B00000F7
	ds_read_b128 v[180:183], v247 offset:4608                  // 00000000EE38: D9FE1200 B40000F7
	ds_read_b128 v[184:187], v247 offset:4864                  // 00000000EE40: D9FE1300 B80000F7
	buffer_load_dword v157, v239, s[32:35], 0 offen            // 00000000EE48: E0501000 80089DEF
	v_mul_f32_e32 v206, v200, v206                             // 00000000EE50: 0B9D9DC8
	v_mov_b32_e32 v207, 0                                      // 00000000EE54: 7F9E0280
	v_pk_add_f32 v[206:207], v[4:5], v[206:207]                // 00000000EE58: D3B240CE 18039D04
	v_pk_add_f32 v[206:207], v[6:7], v[206:207]                // 00000000EE60: D3B240CE 18039D06
	v_pk_add_f32 v[206:207], v[8:9], v[206:207]                // 00000000EE68: D3B240CE 18039D08
	v_pk_add_f32 v[206:207], v[10:11], v[206:207]              // 00000000EE70: D3B240CE 18039D0A
	v_pk_add_f32 v[206:207], v[12:13], v[206:207]              // 00000000EE78: D3B240CE 18039D0C
	v_pk_add_f32 v[206:207], v[14:15], v[206:207]              // 00000000EE80: D3B240CE 18039D0E
	v_pk_add_f32 v[206:207], v[16:17], v[206:207]              // 00000000EE88: D3B240CE 18039D10
	v_pk_add_f32 v[206:207], v[18:19], v[206:207]              // 00000000EE90: D3B240CE 18039D12
	v_add_f32_e32 v206, v207, v206                             // 00000000EE98: 039D9DCF
	v_mul_f32_e32 v208, v202, v208                             // 00000000EE9C: 0BA1A1CA
	v_mov_b32_e32 v209, 0                                      // 00000000EEA0: 7FA20280
	v_pk_add_f32 v[208:209], v[20:21], v[208:209]              // 00000000EEA4: D3B240D0 1803A114
	v_pk_add_f32 v[208:209], v[22:23], v[208:209]              // 00000000EEAC: D3B240D0 1803A116
	v_pk_add_f32 v[208:209], v[24:25], v[208:209]              // 00000000EEB4: D3B240D0 1803A118
	v_pk_add_f32 v[208:209], v[26:27], v[208:209]              // 00000000EEBC: D3B240D0 1803A11A
	v_pk_add_f32 v[208:209], v[28:29], v[208:209]              // 00000000EEC4: D3B240D0 1803A11C
	v_pk_add_f32 v[208:209], v[30:31], v[208:209]              // 00000000EECC: D3B240D0 1803A11E
	v_pk_add_f32 v[208:209], v[32:33], v[208:209]              // 00000000EED4: D3B240D0 1803A120
	v_pk_add_f32 v[208:209], v[34:35], v[208:209]              // 00000000EEDC: D3B240D0 1803A122
	v_add_f32_e32 v208, v209, v208                             // 00000000EEE4: 03A1A1D1
	v_mul_f32_e32 v210, v204, v210                             // 00000000EEE8: 0BA5A5CC
	v_mov_b32_e32 v211, 0                                      // 00000000EEEC: 7FA60280
	v_pk_add_f32 v[210:211], v[36:37], v[210:211]              // 00000000EEF0: D3B240D2 1803A524
	v_pk_add_f32 v[210:211], v[38:39], v[210:211]              // 00000000EEF8: D3B240D2 1803A526
	v_pk_add_f32 v[210:211], v[40:41], v[210:211]              // 00000000EF00: D3B240D2 1803A528
	v_pk_add_f32 v[210:211], v[42:43], v[210:211]              // 00000000EF08: D3B240D2 1803A52A
	v_add_f32_e32 v210, v211, v210                             // 00000000EF10: 03A5A5D3
	s_waitcnt lgkmcnt(0)                                       // 00000000EF14: BF8CC07F
	v_max3_f32 v188, v172, v176, v188                          // 00000000EF18: D1D300BC 06F361AC
	v_max3_f32 v189, v173, v177, v189                          // 00000000EF20: D1D300BD 06F763AD
	v_max3_f32 v190, v174, v178, v190                          // 00000000EF28: D1D300BE 06FB65AE
	v_max3_f32 v188, v180, v184, v188                          // 00000000EF30: D1D300BC 06F371B4
	v_max3_f32 v189, v181, v185, v189                          // 00000000EF38: D1D300BD 06F773B5
	v_max3_f32 v190, v182, v186, v190                          // 00000000EF40: D1D300BE 06FB75B6
	v_rcp_f32_e32 v188, v188                                   // 00000000EF48: 7F7845BC
	v_rcp_f32_e32 v189, v189                                   // 00000000EF4C: 7F7A45BD
	v_rcp_f32_e32 v190, v190                                   // 00000000EF50: 7F7C45BE
	v_mul_f32_e32 v188, 0x43700000, v188                       // 00000000EF54: 0B7978FF 43700000
	v_mul_f32_e32 v189, 0x43700000, v189                       // 00000000EF5C: 0B7B7AFF 43700000
	v_mul_f32_e32 v190, 0x43700000, v190                       // 00000000EF64: 0B7D7CFF 43700000
	v_mov_b32_e32 v192, v190                                   // 00000000EF6C: 7F8003BE
	v_mov_b32_e32 v193, v190                                   // 00000000EF70: 7F8203BE
	v_mov_b32_e32 v190, v189                                   // 00000000EF74: 7F7C03BD
	v_mov_b32_e32 v191, v189                                   // 00000000EF78: 7F7E03BD
	v_mov_b32_e32 v189, v188                                   // 00000000EF7C: 7F7A03BC
	v_pk_mul_f32 v[4:5], v[188:189], v[52:53]                  // 00000000EF80: D3B14004 180269BC
	v_pk_mul_f32 v[6:7], v[188:189], v[54:55]                  // 00000000EF88: D3B14006 18026DBC
	v_pk_mul_f32 v[8:9], v[188:189], v[56:57]                  // 00000000EF90: D3B14008 180271BC
	v_pk_mul_f32 v[10:11], v[188:189], v[58:59]                // 00000000EF98: D3B1400A 180275BC
	v_pk_mul_f32 v[12:13], v[188:189], v[60:61]                // 00000000EFA0: D3B1400C 180279BC
	v_pk_mul_f32 v[14:15], v[188:189], v[62:63]                // 00000000EFA8: D3B1400E 18027DBC
	v_pk_mul_f32 v[16:17], v[188:189], v[64:65]                // 00000000EFB0: D3B14010 180281BC
	v_pk_mul_f32 v[18:19], v[188:189], v[66:67]                // 00000000EFB8: D3B14012 180285BC
	v_pk_mul_f32 v[20:21], v[190:191], v[68:69]                // 00000000EFC0: D3B14014 180289BE
	v_pk_mul_f32 v[22:23], v[190:191], v[70:71]                // 00000000EFC8: D3B14016 18028DBE
	v_pk_mul_f32 v[24:25], v[190:191], v[72:73]                // 00000000EFD0: D3B14018 180291BE
	v_pk_mul_f32 v[26:27], v[190:191], v[74:75]                // 00000000EFD8: D3B1401A 180295BE
	v_pk_mul_f32 v[28:29], v[190:191], v[76:77]                // 00000000EFE0: D3B1401C 180299BE
	v_pk_mul_f32 v[30:31], v[190:191], v[78:79]                // 00000000EFE8: D3B1401E 18029DBE
	v_pk_mul_f32 v[32:33], v[190:191], v[80:81]                // 00000000EFF0: D3B14020 1802A1BE
	v_pk_mul_f32 v[34:35], v[190:191], v[82:83]                // 00000000EFF8: D3B14022 1802A5BE
	v_pk_mul_f32 v[36:37], v[192:193], v[84:85]                // 00000000F000: D3B14024 1802A9C0
	v_pk_mul_f32 v[38:39], v[192:193], v[86:87]                // 00000000F008: D3B14026 1802ADC0
	v_pk_mul_f32 v[40:41], v[192:193], v[88:89]                // 00000000F010: D3B14028 1802B1C0
	v_pk_mul_f32 v[42:43], v[192:193], v[90:91]                // 00000000F018: D3B1402A 1802B5C0
	v_cvt_pk_fp8_f32 v4, v4, v5                                // 00000000F020: D2A20004 00020B04
	v_cvt_pk_fp8_f32 v4, v6, v7 op_sel:[0,0,1]                 // 00000000F028: D2A24004 00020F06
	v_cvt_pk_fp8_f32 v5, v8, v9                                // 00000000F030: D2A20005 00021308
	v_cvt_pk_fp8_f32 v5, v10, v11 op_sel:[0,0,1]               // 00000000F038: D2A24005 0002170A
	v_cvt_pk_fp8_f32 v6, v12, v13                              // 00000000F040: D2A20006 00021B0C
	v_cvt_pk_fp8_f32 v6, v14, v15 op_sel:[0,0,1]               // 00000000F048: D2A24006 00021F0E
	v_cvt_pk_fp8_f32 v7, v16, v17                              // 00000000F050: D2A20007 00022310
	v_cvt_pk_fp8_f32 v7, v18, v19 op_sel:[0,0,1]               // 00000000F058: D2A24007 00022712
	v_cvt_pk_fp8_f32 v8, v20, v21                              // 00000000F060: D2A20008 00022B14
	v_cvt_pk_fp8_f32 v8, v22, v23 op_sel:[0,0,1]               // 00000000F068: D2A24008 00022F16
	v_cvt_pk_fp8_f32 v9, v24, v25                              // 00000000F070: D2A20009 00023318
	v_cvt_pk_fp8_f32 v9, v26, v27 op_sel:[0,0,1]               // 00000000F078: D2A24009 0002371A
	v_cvt_pk_fp8_f32 v10, v28, v29                             // 00000000F080: D2A2000A 00023B1C
	v_cvt_pk_fp8_f32 v10, v30, v31 op_sel:[0,0,1]              // 00000000F088: D2A2400A 00023F1E
	v_cvt_pk_fp8_f32 v11, v32, v33                             // 00000000F090: D2A2000B 00024320
	v_cvt_pk_fp8_f32 v11, v34, v35 op_sel:[0,0,1]              // 00000000F098: D2A2400B 00024722
	v_cvt_pk_fp8_f32 v12, v36, v37                             // 00000000F0A0: D2A2000C 00024B24
	v_cvt_pk_fp8_f32 v12, v38, v39 op_sel:[0,0,1]              // 00000000F0A8: D2A2400C 00024F26
	v_cvt_pk_fp8_f32 v13, v40, v41                             // 00000000F0B0: D2A2000D 00025328
	v_cvt_pk_fp8_f32 v13, v42, v43 op_sel:[0,0,1]              // 00000000F0B8: D2A2400D 0002572A
	v_mov_b32_dpp v14, v12 row_shl:8 row_mask:0xf bank_mask:0xf bound_ctrl:1// 00000000F0C0: 7E1C02FA FF09080C
	v_and_b32_e32 v12, v12, v224                               // 00000000F0C8: 2619C10C
	v_mov_b32_dpp v15, v13 row_shl:8 row_mask:0xf bank_mask:0xf bound_ctrl:1// 00000000F0CC: 7E1E02FA FF09080D
	v_and_b32_e32 v13, v13, v224                               // 00000000F0D4: 261BC10D
	ds_write_b32 v248, v4 offset:8192                          // 00000000F0D8: D81A2000 000004F8
	ds_write_b32 v248, v5 offset:9216                          // 00000000F0E0: D81A2400 000005F8
	ds_write_b32 v248, v6 offset:10240                         // 00000000F0E8: D81A2800 000006F8
	ds_write_b32 v248, v7 offset:11264                         // 00000000F0F0: D81A2C00 000007F8
	ds_write_b32 v248, v8 offset:12288                         // 00000000F0F8: D81A3000 000008F8
	ds_write_b32 v248, v9 offset:13312                         // 00000000F100: D81A3400 000009F8
	ds_write_b32 v248, v10 offset:14336                        // 00000000F108: D81A3800 00000AF8
	ds_write_b32 v248, v11 offset:15360                        // 00000000F110: D81A3C00 00000BF8
	ds_write_b32 v248, v12 offset:16384                        // 00000000F118: D81A4000 00000CF8
	ds_write_b32 v248, v13 offset:17408                        // 00000000F120: D81A4400 00000DF8
	ds_write_b32 v248, v14 offset:18432                        // 00000000F128: D81A4800 00000EF8
	ds_write_b32 v248, v15 offset:19456                        // 00000000F130: D81A4C00 00000FF8
	v_rcp_f32_e32 v158, v188                                   // 00000000F138: 7F3C45BC
	v_rcp_f32_e32 v160, v190                                   // 00000000F13C: 7F4045BE
	v_rcp_f32_e32 v162, v192                                   // 00000000F140: 7F4445C0
	v_mov_b32_e32 v159, v158                                   // 00000000F144: 7F3E039E
	v_mov_b32_e32 v161, v160                                   // 00000000F148: 7F4203A0
	v_mov_b32_e32 v163, v162                                   // 00000000F14C: 7F4603A2
	v_pk_add_f32 v[124:125], v[124:125], v[100:101]            // 00000000F150: D3B2407C 1802C97C
	v_pk_add_f32 v[126:127], v[126:127], v[102:103]            // 00000000F158: D3B2407E 1802CD7E
	v_pk_add_f32 v[128:129], v[128:129], v[104:105]            // 00000000F160: D3B24080 1802D180
	v_pk_add_f32 v[130:131], v[130:131], v[106:107]            // 00000000F168: D3B24082 1802D582
	v_pk_add_f32 v[132:133], v[132:133], v[108:109]            // 00000000F170: D3B24084 1802D984
	v_pk_add_f32 v[134:135], v[134:135], v[110:111]            // 00000000F178: D3B24086 1802DD86
	v_pk_add_f32 v[136:137], v[136:137], v[112:113]            // 00000000F180: D3B24088 1802E188
	v_pk_add_f32 v[138:139], v[138:139], v[114:115]            // 00000000F188: D3B2408A 1802E58A
	v_pk_add_f32 v[140:141], v[140:141], v[116:117]            // 00000000F190: D3B2408C 1802E98C
	v_pk_add_f32 v[142:143], v[142:143], v[118:119]            // 00000000F198: D3B2408E 1802ED8E
	v_pk_add_f32 v[144:145], v[144:145], v[120:121]            // 00000000F1A0: D3B24090 1802F190
	v_pk_add_f32 v[146:147], v[146:147], v[122:123]            // 00000000F1A8: D3B24092 1802F592
	s_waitcnt lgkmcnt(0)                                       // 00000000F1B0: BF8CC07F
	s_barrier                                                  // 00000000F1B4: BF8A0000
	ds_read_b128 v[4:7], v249 offset:8192                      // 00000000F1B8: D9FE2000 040000F9
	ds_read_b128 v[8:11], v249 offset:9216                     // 00000000F1C0: D9FE2400 080000F9
	ds_read_b128 v[12:15], v249 offset:10240                   // 00000000F1C8: D9FE2800 0C0000F9
	ds_read_b128 v[16:19], v249 offset:11264                   // 00000000F1D0: D9FE2C00 100000F9
	ds_read_b128 v[20:23], v249 offset:12288                   // 00000000F1D8: D9FE3000 140000F9
	ds_read_b128 v[24:27], v249 offset:13312                   // 00000000F1E0: D9FE3400 180000F9
	ds_read_b128 v[28:31], v249 offset:14336                   // 00000000F1E8: D9FE3800 1C0000F9
	ds_read_b128 v[32:35], v249 offset:15360                   // 00000000F1F0: D9FE3C00 200000F9
	ds_read_b128 v[36:39], v249 offset:16384                   // 00000000F1F8: D9FE4000 240000F9
	ds_read_b128 v[40:43], v249 offset:17408                   // 00000000F200: D9FE4400 280000F9
	ds_read_b128 v[44:47], v249 offset:18432                   // 00000000F208: D9FE4800 2C0000F9
	ds_read_b128 v[48:51], v249 offset:19456                   // 00000000F210: D9FE4C00 300000F9
	s_waitcnt vmcnt(10)                                        // 00000000F218: BF8C0F7A
	s_waitcnt lgkmcnt(11)                                      // 00000000F21C: BF8CCB7F
	v_mfma_f32_16x16x32_fp8_fp8 v[100:103], a[88:89], v[4:5], 0// 00000000F220: D3F30064 0A020958
	v_mfma_f32_16x16x32_fp8_fp8 v[104:107], a[104:105], v[4:5], 0// 00000000F228: D3F30068 0A020968
	v_mfma_f32_16x16x32_fp8_fp8 v[100:103], a[90:91], v[6:7], v[100:103]// 00000000F230: D3F30064 0D920D5A
	buffer_load_dwordx4 a[120:123], v234, s[16:19], 0 offen    // 00000000F238: E05C1000 808478EA
	v_mfma_f32_16x16x32_fp8_fp8 v[104:107], a[106:107], v[6:7], v[104:107]// 00000000F240: D3F30068 0DA20D6A
	s_waitcnt lgkmcnt(10)                                      // 00000000F248: BF8CCA7F
	v_mfma_f32_16x16x32_fp8_fp8 v[100:103], a[92:93], v[8:9], v[100:103]// 00000000F24C: D3F30064 0D92115C
	v_mfma_f32_16x16x32_fp8_fp8 v[104:107], a[108:109], v[8:9], v[104:107]// 00000000F254: D3F30068 0DA2116C
	v_mfma_f32_16x16x32_fp8_fp8 v[100:103], a[94:95], v[10:11], v[100:103]// 00000000F25C: D3F30064 0D92155E
	buffer_load_dwordx4 a[124:127], v235, s[16:19], 0 offen    // 00000000F264: E05C1000 80847CEB
	v_mfma_f32_16x16x32_fp8_fp8 v[104:107], a[110:111], v[10:11], v[104:107]// 00000000F26C: D3F30068 0DA2156E
	s_waitcnt lgkmcnt(9)                                       // 00000000F274: BF8CC97F
	v_mfma_f32_16x16x32_fp8_fp8 v[100:103], a[96:97], v[12:13], v[100:103]// 00000000F278: D3F30064 0D921960
	v_mfma_f32_16x16x32_fp8_fp8 v[104:107], a[112:113], v[12:13], v[104:107]// 00000000F280: D3F30068 0DA21970
	v_mfma_f32_16x16x32_fp8_fp8 v[100:103], a[98:99], v[14:15], v[100:103]// 00000000F288: D3F30064 0D921D62
	buffer_load_dwordx4 a[128:131], v236, s[16:19], 0 offen    // 00000000F290: E05C1000 808480EC
	v_mfma_f32_16x16x32_fp8_fp8 v[104:107], a[114:115], v[14:15], v[104:107]// 00000000F298: D3F30068 0DA21D72
	s_waitcnt lgkmcnt(8)                                       // 00000000F2A0: BF8CC87F
	v_mfma_f32_16x16x32_fp8_fp8 v[100:103], a[100:101], v[16:17], v[100:103]// 00000000F2A4: D3F30064 0D922164
	v_mfma_f32_16x16x32_fp8_fp8 v[104:107], a[116:117], v[16:17], v[104:107]// 00000000F2AC: D3F30068 0DA22174
	v_mfma_f32_16x16x32_fp8_fp8 v[100:103], a[102:103], v[18:19], v[100:103]// 00000000F2B4: D3F30064 0D922566
	buffer_load_dwordx4 a[132:135], v237, s[16:19], 0 offen    // 00000000F2BC: E05C1000 808484ED
	v_mfma_f32_16x16x32_fp8_fp8 v[104:107], a[118:119], v[18:19], v[104:107]// 00000000F2C4: D3F30068 0DA22576
	s_waitcnt lgkmcnt(7)                                       // 00000000F2CC: BF8CC77F
	v_mfma_f32_16x16x32_fp8_fp8 v[108:111], a[88:89], v[20:21], 0// 00000000F2D0: D3F3006C 0A022958
	v_mfma_f32_16x16x32_fp8_fp8 v[112:115], a[104:105], v[20:21], 0// 00000000F2D8: D3F30070 0A022968
	v_mfma_f32_16x16x32_fp8_fp8 v[108:111], a[90:91], v[22:23], v[108:111]// 00000000F2E0: D3F3006C 0DB22D5A
	buffer_load_dwordx4 a[136:139], v234, s[16:19], 0 offen offset:1024// 00000000F2E8: E05C1400 808488EA
	v_mfma_f32_16x16x32_fp8_fp8 v[112:115], a[106:107], v[22:23], v[112:115]// 00000000F2F0: D3F30070 0DC22D6A
	s_waitcnt lgkmcnt(6)                                       // 00000000F2F8: BF8CC67F
	v_mfma_f32_16x16x32_fp8_fp8 v[108:111], a[92:93], v[24:25], v[108:111]// 00000000F2FC: D3F3006C 0DB2315C
	v_mfma_f32_16x16x32_fp8_fp8 v[112:115], a[108:109], v[24:25], v[112:115]// 00000000F304: D3F30070 0DC2316C
	v_mfma_f32_16x16x32_fp8_fp8 v[108:111], a[94:95], v[26:27], v[108:111]// 00000000F30C: D3F3006C 0DB2355E
	buffer_load_dwordx4 a[140:143], v235, s[16:19], 0 offen offset:1024// 00000000F314: E05C1400 80848CEB
	v_mfma_f32_16x16x32_fp8_fp8 v[112:115], a[110:111], v[26:27], v[112:115]// 00000000F31C: D3F30070 0DC2356E
	s_waitcnt lgkmcnt(5)                                       // 00000000F324: BF8CC57F
	v_mfma_f32_16x16x32_fp8_fp8 v[108:111], a[96:97], v[28:29], v[108:111]// 00000000F328: D3F3006C 0DB23960
	v_mfma_f32_16x16x32_fp8_fp8 v[112:115], a[112:113], v[28:29], v[112:115]// 00000000F330: D3F30070 0DC23970
	v_mfma_f32_16x16x32_fp8_fp8 v[108:111], a[98:99], v[30:31], v[108:111]// 00000000F338: D3F3006C 0DB23D62
	buffer_load_dwordx4 a[144:147], v236, s[16:19], 0 offen offset:1024// 00000000F340: E05C1400 808490EC
	v_mfma_f32_16x16x32_fp8_fp8 v[112:115], a[114:115], v[30:31], v[112:115]// 00000000F348: D3F30070 0DC23D72
	s_waitcnt lgkmcnt(4)                                       // 00000000F350: BF8CC47F
	v_mfma_f32_16x16x32_fp8_fp8 v[108:111], a[100:101], v[32:33], v[108:111]// 00000000F354: D3F3006C 0DB24164
	v_mfma_f32_16x16x32_fp8_fp8 v[112:115], a[116:117], v[32:33], v[112:115]// 00000000F35C: D3F30070 0DC24174
	v_mfma_f32_16x16x32_fp8_fp8 v[108:111], a[102:103], v[34:35], v[108:111]// 00000000F364: D3F3006C 0DB24566
	buffer_load_dwordx4 a[148:151], v237, s[16:19], 0 offen offset:1024// 00000000F36C: E05C1400 808494ED
	v_mfma_f32_16x16x32_fp8_fp8 v[112:115], a[118:119], v[34:35], v[112:115]// 00000000F374: D3F30070 0DC24576
	s_waitcnt lgkmcnt(3)                                       // 00000000F37C: BF8CC37F
	v_mfma_f32_16x16x32_fp8_fp8 v[116:119], a[88:89], v[36:37], 0// 00000000F380: D3F30074 0A024958
	v_mfma_f32_16x16x32_fp8_fp8 v[120:123], a[104:105], v[36:37], 0// 00000000F388: D3F30078 0A024968
	v_mfma_f32_16x16x32_fp8_fp8 v[116:119], a[90:91], v[38:39], v[116:119]// 00000000F390: D3F30074 0DD24D5A
	v_mfma_f32_16x16x32_fp8_fp8 v[120:123], a[106:107], v[38:39], v[120:123]// 00000000F398: D3F30078 0DE24D6A
	s_waitcnt lgkmcnt(2)                                       // 00000000F3A0: BF8CC27F
	v_mfma_f32_16x16x32_fp8_fp8 v[116:119], a[92:93], v[40:41], v[116:119]// 00000000F3A4: D3F30074 0DD2515C
	v_mfma_f32_16x16x32_fp8_fp8 v[120:123], a[108:109], v[40:41], v[120:123]// 00000000F3AC: D3F30078 0DE2516C
	v_mfma_f32_16x16x32_fp8_fp8 v[116:119], a[94:95], v[42:43], v[116:119]// 00000000F3B4: D3F30074 0DD2555E
	v_mfma_f32_16x16x32_fp8_fp8 v[120:123], a[110:111], v[42:43], v[120:123]// 00000000F3BC: D3F30078 0DE2556E
	s_waitcnt lgkmcnt(1)                                       // 00000000F3C4: BF8CC17F
	v_mfma_f32_16x16x32_fp8_fp8 v[116:119], a[96:97], v[44:45], v[116:119]// 00000000F3C8: D3F30074 0DD25960
	v_mfma_f32_16x16x32_fp8_fp8 v[120:123], a[112:113], v[44:45], v[120:123]// 00000000F3D0: D3F30078 0DE25970
	v_mfma_f32_16x16x32_fp8_fp8 v[116:119], a[98:99], v[46:47], v[116:119]// 00000000F3D8: D3F30074 0DD25D62
	v_mfma_f32_16x16x32_fp8_fp8 v[120:123], a[114:115], v[46:47], v[120:123]// 00000000F3E0: D3F30078 0DE25D72
	s_waitcnt lgkmcnt(0)                                       // 00000000F3E8: BF8CC07F
	v_mfma_f32_16x16x32_fp8_fp8 v[116:119], a[100:101], v[48:49], v[116:119]// 00000000F3EC: D3F30074 0DD26164
	v_mfma_f32_16x16x32_fp8_fp8 v[120:123], a[116:117], v[48:49], v[120:123]// 00000000F3F4: D3F30078 0DE26174
	v_mfma_f32_16x16x32_fp8_fp8 v[116:119], a[102:103], v[50:51], v[116:119]// 00000000F3FC: D3F30074 0DD26566
	v_mfma_f32_16x16x32_fp8_fp8 v[120:123], a[118:119], v[50:51], v[120:123]// 00000000F404: D3F30078 0DE26576
	s_addk_i32 s49, 0x100                                      // 00000000F40C: B7310100
	s_branch label_3F2E                                        // 00000000F410: BF820A69

000000000000f414 <label_34C5>:
	s_cmp_lt_i32 s49, s60                                      // 00000000F414: BF043C31
	s_cbranch_scc0 label_3F2E                                  // 00000000F418: BF840A67
	s_waitcnt vmcnt(10)                                        // 00000000F41C: BF8C0F7A
	v_mfma_f32_16x16x32_fp8_fp8 v[4:7], a[56:57], a[0:1], 0    // 00000000F420: D3F30004 1A020138
	s_add_u32 s12, s76, s64                                    // 00000000F428: 800C404C
	s_addc_u32 s13, s77, 0                                     // 00000000F42C: 820D804D
	v_mfma_f32_16x16x32_fp8_fp8 v[4:7], a[58:59], a[2:3], v[4:7]// 00000000F430: D3F30004 1C12053A
	s_add_u32 s16, s78, s65                                    // 00000000F438: 8010414E
	s_addc_u32 s17, s79, 0                                     // 00000000F43C: 8211804F
	v_mfma_f32_16x16x32_fp8_fp8 v[4:7], a[60:61], a[4:5], v[4:7]// 00000000F440: D3F30004 1C12093C
	buffer_load_dwordx4 a[24:27], v232, s[12:15], 0 offen      // 00000000F448: E05C1000 808318E8
	v_mfma_f32_16x16x32_fp8_fp8 v[4:7], a[62:63], a[6:7], v[4:7]// 00000000F450: D3F30004 1C120D3E
	s_add_u32 s28, s80, s66                                    // 00000000F458: 801C4250
	s_addc_u32 s29, s81, 0                                     // 00000000F45C: 821D8051
	v_mfma_f32_16x16x32_fp8_fp8 v[8:11], a[64:65], a[0:1], 0   // 00000000F460: D3F30008 1A020140
	s_add_u32 s32, s82, s66                                    // 00000000F468: 80204252
	s_addc_u32 s33, s83, 0                                     // 00000000F46C: 82218053
	v_mfma_f32_16x16x32_fp8_fp8 v[8:11], a[66:67], a[2:3], v[8:11]// 00000000F470: D3F30008 1C220542
	s_add_u32 s64, s64, 0x1000                                 // 00000000F478: 8040FF40 00001000
	s_add_u32 s65, s65, 0x8000                                 // 00000000F480: 8041FF41 00008000
	v_mfma_f32_16x16x32_fp8_fp8 v[8:11], a[68:69], a[4:5], v[8:11]// 00000000F488: D3F30008 1C220944
	buffer_load_dwordx4 a[28:31], v233, s[12:15], 0 offen      // 00000000F490: E05C1000 80831CE9
	v_mfma_f32_16x16x32_fp8_fp8 v[8:11], a[70:71], a[6:7], v[8:11]// 00000000F498: D3F30008 1C220D46
	s_add_u32 s66, s66, 0x400                                  // 00000000F4A0: 8042FF42 00000400
	v_mfma_f32_16x16x32_fp8_fp8 v[12:15], a[72:73], a[0:1], 0  // 00000000F4A8: D3F3000C 1A020148
	v_mfma_f32_16x16x32_fp8_fp8 v[12:15], a[74:75], a[2:3], v[12:15]// 00000000F4B0: D3F3000C 1C32054A
	v_mfma_f32_16x16x32_fp8_fp8 v[12:15], a[76:77], a[4:5], v[12:15]// 00000000F4B8: D3F3000C 1C32094C
	buffer_load_dwordx4 a[32:35], v232, s[12:15], 0 offen offset:1024// 00000000F4C0: E05C1400 808320E8
	v_mfma_f32_16x16x32_fp8_fp8 v[12:15], a[78:79], a[6:7], v[12:15]// 00000000F4C8: D3F3000C 1C320D4E
	v_mfma_f32_16x16x32_fp8_fp8 v[16:19], a[80:81], a[0:1], 0  // 00000000F4D0: D3F30010 1A020150
	v_mfma_f32_16x16x32_fp8_fp8 v[16:19], a[82:83], a[2:3], v[16:19]// 00000000F4D8: D3F30010 1C420552
	v_mfma_f32_16x16x32_fp8_fp8 v[16:19], a[84:85], a[4:5], v[16:19]// 00000000F4E0: D3F30010 1C420954
	buffer_load_dwordx4 a[36:39], v233, s[12:15], 0 offen offset:1024// 00000000F4E8: E05C1400 808324E9
	v_mfma_f32_16x16x32_fp8_fp8 v[16:19], a[86:87], a[6:7], v[16:19]// 00000000F4F0: D3F30010 1C420D56
	v_mfma_f32_16x16x32_fp8_fp8 v[20:23], a[56:57], a[8:9], 0  // 00000000F4F8: D3F30014 1A021138
	v_mfma_f32_16x16x32_fp8_fp8 v[20:23], a[58:59], a[10:11], v[20:23]// 00000000F500: D3F30014 1C52153A
	v_mfma_f32_16x16x32_fp8_fp8 v[20:23], a[60:61], a[12:13], v[20:23]// 00000000F508: D3F30014 1C52193C
	buffer_load_dwordx4 a[40:43], v232, s[12:15], 0 offen offset:2048// 00000000F510: E05C1800 808328E8
	v_mfma_f32_16x16x32_fp8_fp8 v[20:23], a[62:63], a[14:15], v[20:23]// 00000000F518: D3F30014 1C521D3E
	v_mfma_f32_16x16x32_fp8_fp8 v[24:27], a[64:65], a[8:9], 0  // 00000000F520: D3F30018 1A021140
	v_mfma_f32_16x16x32_fp8_fp8 v[24:27], a[66:67], a[10:11], v[24:27]// 00000000F528: D3F30018 1C621542
	v_mfma_f32_16x16x32_fp8_fp8 v[24:27], a[68:69], a[12:13], v[24:27]// 00000000F530: D3F30018 1C621944
	buffer_load_dwordx4 a[44:47], v233, s[12:15], 0 offen offset:2048// 00000000F538: E05C1800 80832CE9
	v_mfma_f32_16x16x32_fp8_fp8 v[24:27], a[70:71], a[14:15], v[24:27]// 00000000F540: D3F30018 1C621D46
	v_mfma_f32_16x16x32_fp8_fp8 v[28:31], a[72:73], a[8:9], 0  // 00000000F548: D3F3001C 1A021148
	v_mfma_f32_16x16x32_fp8_fp8 v[28:31], a[74:75], a[10:11], v[28:31]// 00000000F550: D3F3001C 1C72154A
	v_mfma_f32_16x16x32_fp8_fp8 v[28:31], a[76:77], a[12:13], v[28:31]// 00000000F558: D3F3001C 1C72194C
	buffer_load_dwordx4 a[48:51], v232, s[12:15], 0 offen offset:3072// 00000000F560: E05C1C00 808330E8
	v_mfma_f32_16x16x32_fp8_fp8 v[28:31], a[78:79], a[14:15], v[28:31]// 00000000F568: D3F3001C 1C721D4E
	v_mfma_f32_16x16x32_fp8_fp8 v[32:35], a[80:81], a[8:9], 0  // 00000000F570: D3F30020 1A021150
	v_mfma_f32_16x16x32_fp8_fp8 v[32:35], a[82:83], a[10:11], v[32:35]// 00000000F578: D3F30020 1C821552
	v_mfma_f32_16x16x32_fp8_fp8 v[32:35], a[84:85], a[12:13], v[32:35]// 00000000F580: D3F30020 1C821954
	buffer_load_dwordx4 a[52:55], v233, s[12:15], 0 offen offset:3072// 00000000F588: E05C1C00 808334E9
	v_mfma_f32_16x16x32_fp8_fp8 v[32:35], a[86:87], a[14:15], v[32:35]// 00000000F590: D3F30020 1C821D56
	v_mfma_f32_16x16x32_fp8_fp8 v[36:39], a[56:57], a[16:17], 0// 00000000F598: D3F30024 1A022138
	v_mfma_f32_16x16x32_fp8_fp8 v[36:39], a[58:59], a[18:19], v[36:39]// 00000000F5A0: D3F30024 1C92253A
	v_mfma_f32_16x16x32_fp8_fp8 v[36:39], a[60:61], a[20:21], v[36:39]// 00000000F5A8: D3F30024 1C92293C
	v_mfma_f32_16x16x32_fp8_fp8 v[36:39], a[62:63], a[22:23], v[36:39]// 00000000F5B0: D3F30024 1C922D3E
	v_mfma_f32_16x16x32_fp8_fp8 v[40:43], a[64:65], a[16:17], 0// 00000000F5B8: D3F30028 1A022140
	v_mfma_f32_16x16x32_fp8_fp8 v[40:43], a[66:67], a[18:19], v[40:43]// 00000000F5C0: D3F30028 1CA22542
	v_mfma_f32_16x16x32_fp8_fp8 v[40:43], a[68:69], a[20:21], v[40:43]// 00000000F5C8: D3F30028 1CA22944
	v_mfma_f32_16x16x32_fp8_fp8 v[40:43], a[70:71], a[22:23], v[40:43]// 00000000F5D0: D3F30028 1CA22D46
	v_mfma_f32_16x16x32_fp8_fp8 v[44:47], a[72:73], a[16:17], 0// 00000000F5D8: D3F3002C 1A022148
	v_mfma_f32_16x16x32_fp8_fp8 v[44:47], a[74:75], a[18:19], v[44:47]// 00000000F5E0: D3F3002C 1CB2254A
	v_mfma_f32_16x16x32_fp8_fp8 v[44:47], a[76:77], a[20:21], v[44:47]// 00000000F5E8: D3F3002C 1CB2294C
	v_mfma_f32_16x16x32_fp8_fp8 v[44:47], a[78:79], a[22:23], v[44:47]// 00000000F5F0: D3F3002C 1CB22D4E
	v_mfma_f32_16x16x32_fp8_fp8 v[48:51], a[80:81], a[16:17], 0// 00000000F5F8: D3F30030 1A022150
	v_mfma_f32_16x16x32_fp8_fp8 v[48:51], a[82:83], a[18:19], v[48:51]// 00000000F600: D3F30030 1CC22552
	v_mfma_f32_16x16x32_fp8_fp8 v[48:51], a[84:85], a[20:21], v[48:51]// 00000000F608: D3F30030 1CC22954
	v_mfma_f32_16x16x32_fp8_fp8 v[48:51], a[86:87], a[22:23], v[48:51]// 00000000F610: D3F30030 1CC22D56
	s_waitcnt vmcnt(16)                                        // 00000000F618: BF8C4F70
	v_or_b32_dpp v36, v44, v36 row_shr:8 row_mask:0xf bank_mask:0xf bound_ctrl:1// 00000000F61C: 284848FA FF09182C
	v_or_b32_dpp v37, v45, v37 row_shr:8 row_mask:0xf bank_mask:0xf bound_ctrl:1// 00000000F624: 284A4AFA FF09182D
	v_or_b32_dpp v38, v46, v38 row_shr:8 row_mask:0xf bank_mask:0xf bound_ctrl:1// 00000000F62C: 284C4CFA FF09182E
	v_or_b32_dpp v39, v47, v39 row_shr:8 row_mask:0xf bank_mask:0xf bound_ctrl:1// 00000000F634: 284E4EFA FF09182F
	v_or_b32_dpp v40, v48, v40 row_shr:8 row_mask:0xf bank_mask:0xf bound_ctrl:1// 00000000F63C: 285050FA FF091830
	v_or_b32_dpp v41, v49, v41 row_shr:8 row_mask:0xf bank_mask:0xf bound_ctrl:1// 00000000F644: 285252FA FF091831
	v_or_b32_dpp v42, v50, v42 row_shr:8 row_mask:0xf bank_mask:0xf bound_ctrl:1// 00000000F64C: 285454FA FF091832
	v_or_b32_dpp v43, v51, v43 row_shr:8 row_mask:0xf bank_mask:0xf bound_ctrl:1// 00000000F654: 285656FA FF091833
	v_mov_b32_dpp v168, v155 row_shr:4 row_mask:0xf bank_mask:0xf// 00000000F65C: 7F5002FA FF01149B
	v_mov_b32_dpp v169, v155 row_shl:4 row_mask:0xf bank_mask:0xf// 00000000F664: 7F5202FA FF01049B
	v_cndmask_b32_e64 v164, v155, v168, s[90:91]               // 00000000F66C: D10000A4 016B519B
	v_cndmask_b32_e64 v165, v169, v155, s[90:91]               // 00000000F674: D10000A5 016B37A9
	v_mov_b32_dpp v168, v157 row_shr:4 row_mask:0xf bank_mask:0xf// 00000000F67C: 7F5002FA FF01149D
	v_mov_b32_dpp v169, v157 row_shl:4 row_mask:0xf bank_mask:0xf// 00000000F684: 7F5202FA FF01049D
	v_cndmask_b32_e64 v166, v157, v168, s[90:91]               // 00000000F68C: D10000A6 016B519D
	v_cndmask_b32_e64 v167, v169, v157, s[90:91]               // 00000000F694: D10000A7 016B3BA9
	v_pk_mul_f32 v[4:5], v[148:149], v[4:5]                    // 00000000F69C: D3B14004 18020994
	v_pk_mul_f32 v[6:7], v[148:149], v[6:7]                    // 00000000F6A4: D3B14006 18020D94
	v_pk_mul_f32 v[8:9], v[148:149], v[8:9]                    // 00000000F6AC: D3B14008 18021194
	v_pk_mul_f32 v[10:11], v[148:149], v[10:11]                // 00000000F6B4: D3B1400A 18021594
	v_pk_mul_f32 v[12:13], v[148:149], v[12:13]                // 00000000F6BC: D3B1400C 18021994
	v_pk_mul_f32 v[14:15], v[148:149], v[14:15]                // 00000000F6C4: D3B1400E 18021D94
	v_pk_mul_f32 v[16:17], v[148:149], v[16:17]                // 00000000F6CC: D3B14010 18022194
	v_pk_mul_f32 v[18:19], v[148:149], v[18:19]                // 00000000F6D4: D3B14012 18022594
	v_mul_f32_dpp v4, v155, v4 row_newbcast:0 row_mask:0xf bank_mask:0xf// 00000000F6DC: 0A0808FA FF01509B
	v_mul_f32_dpp v5, v155, v5 row_newbcast:1 row_mask:0xf bank_mask:0xf// 00000000F6E4: 0A0A0AFA FF01519B
	v_mul_f32_dpp v6, v155, v6 row_newbcast:2 row_mask:0xf bank_mask:0xf// 00000000F6EC: 0A0C0CFA FF01529B
	v_mul_f32_dpp v7, v155, v7 row_newbcast:3 row_mask:0xf bank_mask:0xf// 00000000F6F4: 0A0E0EFA FF01539B
	v_mul_f32_dpp v8, v155, v8 row_newbcast:4 row_mask:0xf bank_mask:0xf// 00000000F6FC: 0A1010FA FF01549B
	v_mul_f32_dpp v9, v155, v9 row_newbcast:5 row_mask:0xf bank_mask:0xf// 00000000F704: 0A1212FA FF01559B
	v_mul_f32_dpp v10, v155, v10 row_newbcast:6 row_mask:0xf bank_mask:0xf// 00000000F70C: 0A1414FA FF01569B
	v_mul_f32_dpp v11, v155, v11 row_newbcast:7 row_mask:0xf bank_mask:0xf// 00000000F714: 0A1616FA FF01579B
	v_mul_f32_dpp v12, v155, v12 row_newbcast:8 row_mask:0xf bank_mask:0xf// 00000000F71C: 0A1818FA FF01589B
	v_mul_f32_dpp v13, v155, v13 row_newbcast:9 row_mask:0xf bank_mask:0xf// 00000000F724: 0A1A1AFA FF01599B
	v_mul_f32_dpp v14, v155, v14 row_newbcast:10 row_mask:0xf bank_mask:0xf// 00000000F72C: 0A1C1CFA FF015A9B
	v_mul_f32_dpp v15, v155, v15 row_newbcast:11 row_mask:0xf bank_mask:0xf// 00000000F734: 0A1E1EFA FF015B9B
	v_mul_f32_dpp v16, v155, v16 row_newbcast:12 row_mask:0xf bank_mask:0xf// 00000000F73C: 0A2020FA FF015C9B
	v_mul_f32_dpp v17, v155, v17 row_newbcast:13 row_mask:0xf bank_mask:0xf// 00000000F744: 0A2222FA FF015D9B
	v_mul_f32_dpp v18, v155, v18 row_newbcast:14 row_mask:0xf bank_mask:0xf// 00000000F74C: 0A2424FA FF015E9B
	v_mul_f32_dpp v19, v155, v19 row_newbcast:15 row_mask:0xf bank_mask:0xf// 00000000F754: 0A2626FA FF015F9B
	v_pk_mul_f32 v[20:21], v[150:151], v[20:21]                // 00000000F75C: D3B14014 18022996
	v_pk_mul_f32 v[22:23], v[150:151], v[22:23]                // 00000000F764: D3B14016 18022D96
	v_pk_mul_f32 v[24:25], v[150:151], v[24:25]                // 00000000F76C: D3B14018 18023196
	v_pk_mul_f32 v[26:27], v[150:151], v[26:27]                // 00000000F774: D3B1401A 18023596
	v_pk_mul_f32 v[28:29], v[150:151], v[28:29]                // 00000000F77C: D3B1401C 18023996
	v_pk_mul_f32 v[30:31], v[150:151], v[30:31]                // 00000000F784: D3B1401E 18023D96
	v_pk_mul_f32 v[32:33], v[150:151], v[32:33]                // 00000000F78C: D3B14020 18024196
	v_pk_mul_f32 v[34:35], v[150:151], v[34:35]                // 00000000F794: D3B14022 18024596
	v_mul_f32_dpp v20, v155, v20 row_newbcast:0 row_mask:0xf bank_mask:0xf// 00000000F79C: 0A2828FA FF01509B
	v_mul_f32_dpp v21, v155, v21 row_newbcast:1 row_mask:0xf bank_mask:0xf// 00000000F7A4: 0A2A2AFA FF01519B
	v_mul_f32_dpp v22, v155, v22 row_newbcast:2 row_mask:0xf bank_mask:0xf// 00000000F7AC: 0A2C2CFA FF01529B
	v_mul_f32_dpp v23, v155, v23 row_newbcast:3 row_mask:0xf bank_mask:0xf// 00000000F7B4: 0A2E2EFA FF01539B
	v_mul_f32_dpp v24, v155, v24 row_newbcast:4 row_mask:0xf bank_mask:0xf// 00000000F7BC: 0A3030FA FF01549B
	v_mul_f32_dpp v25, v155, v25 row_newbcast:5 row_mask:0xf bank_mask:0xf// 00000000F7C4: 0A3232FA FF01559B
	v_mul_f32_dpp v26, v155, v26 row_newbcast:6 row_mask:0xf bank_mask:0xf// 00000000F7CC: 0A3434FA FF01569B
	v_mul_f32_dpp v27, v155, v27 row_newbcast:7 row_mask:0xf bank_mask:0xf// 00000000F7D4: 0A3636FA FF01579B
	v_mul_f32_dpp v28, v155, v28 row_newbcast:8 row_mask:0xf bank_mask:0xf// 00000000F7DC: 0A3838FA FF01589B
	v_mul_f32_dpp v29, v155, v29 row_newbcast:9 row_mask:0xf bank_mask:0xf// 00000000F7E4: 0A3A3AFA FF01599B
	v_mul_f32_dpp v30, v155, v30 row_newbcast:10 row_mask:0xf bank_mask:0xf// 00000000F7EC: 0A3C3CFA FF015A9B
	v_mul_f32_dpp v31, v155, v31 row_newbcast:11 row_mask:0xf bank_mask:0xf// 00000000F7F4: 0A3E3EFA FF015B9B
	v_mul_f32_dpp v32, v155, v32 row_newbcast:12 row_mask:0xf bank_mask:0xf// 00000000F7FC: 0A4040FA FF015C9B
	v_mul_f32_dpp v33, v155, v33 row_newbcast:13 row_mask:0xf bank_mask:0xf// 00000000F804: 0A4242FA FF015D9B
	v_mul_f32_dpp v34, v155, v34 row_newbcast:14 row_mask:0xf bank_mask:0xf// 00000000F80C: 0A4444FA FF015E9B
	v_mul_f32_dpp v35, v155, v35 row_newbcast:15 row_mask:0xf bank_mask:0xf// 00000000F814: 0A4646FA FF015F9B
	v_pk_mul_f32 v[36:37], v[152:153], v[36:37]                // 00000000F81C: D3B14024 18024998
	v_pk_mul_f32 v[38:39], v[152:153], v[38:39]                // 00000000F824: D3B14026 18024D98
	v_pk_mul_f32 v[40:41], v[152:153], v[40:41]                // 00000000F82C: D3B14028 18025198
	v_pk_mul_f32 v[42:43], v[152:153], v[42:43]                // 00000000F834: D3B1402A 18025598
	v_mul_f32_dpp v36, v164, v36 quad_perm:[0,0,0,0] row_mask:0xf bank_mask:0xf// 00000000F83C: 0A4848FA FF0000A4
	v_mul_f32_dpp v37, v164, v37 quad_perm:[1,1,1,1] row_mask:0xf bank_mask:0xf// 00000000F844: 0A4A4AFA FF0055A4
	v_mul_f32_dpp v38, v164, v38 quad_perm:[2,2,2,2] row_mask:0xf bank_mask:0xf// 00000000F84C: 0A4C4CFA FF00AAA4
	v_mul_f32_dpp v39, v164, v39 quad_perm:[3,3,3,3] row_mask:0xf bank_mask:0xf// 00000000F854: 0A4E4EFA FF00FFA4
	v_mul_f32_dpp v40, v165, v40 quad_perm:[0,0,0,0] row_mask:0xf bank_mask:0xf// 00000000F85C: 0A5050FA FF0000A5
	v_mul_f32_dpp v41, v165, v41 quad_perm:[1,1,1,1] row_mask:0xf bank_mask:0xf// 00000000F864: 0A5252FA FF0055A5
	v_mul_f32_dpp v42, v165, v42 quad_perm:[2,2,2,2] row_mask:0xf bank_mask:0xf// 00000000F86C: 0A5454FA FF00AAA5
	v_mul_f32_dpp v43, v165, v43 quad_perm:[3,3,3,3] row_mask:0xf bank_mask:0xf// 00000000F874: 0A5656FA FF00FFA5
	v_add_u32_e32 v168, s49, v222                              // 00000000F87C: 6951BC31
	v_add_u32_e32 v169, 0, v168                                // 00000000F880: 69535080
	v_cmp_lt_u32_e64 s[84:85], v169, v219                      // 00000000F884: D0C90054 0003B7A9
	s_nop 0                                                    // 00000000F88C: BF800000
	v_cndmask_b32_e64 v4, v225, v4, s[84:85]                   // 00000000F890: D1000004 015209E1
	v_add_u32_e32 v169, 1, v168                                // 00000000F898: 69535081
	v_cmp_lt_u32_e64 s[84:85], v169, v219                      // 00000000F89C: D0C90054 0003B7A9
	s_nop 0                                                    // 00000000F8A4: BF800000
	v_cndmask_b32_e64 v5, v225, v5, s[84:85]                   // 00000000F8A8: D1000005 01520BE1
	v_add_u32_e32 v169, 2, v168                                // 00000000F8B0: 69535082
	v_cmp_lt_u32_e64 s[84:85], v169, v219                      // 00000000F8B4: D0C90054 0003B7A9
	s_nop 0                                                    // 00000000F8BC: BF800000
	v_cndmask_b32_e64 v6, v225, v6, s[84:85]                   // 00000000F8C0: D1000006 01520DE1
	v_add_u32_e32 v169, 3, v168                                // 00000000F8C8: 69535083
	v_cmp_lt_u32_e64 s[84:85], v169, v219                      // 00000000F8CC: D0C90054 0003B7A9
	s_nop 0                                                    // 00000000F8D4: BF800000
	v_cndmask_b32_e64 v7, v225, v7, s[84:85]                   // 00000000F8D8: D1000007 01520FE1
	v_add_u32_e32 v169, 64, v168                               // 00000000F8E0: 695350C0
	v_cmp_lt_u32_e64 s[84:85], v169, v219                      // 00000000F8E4: D0C90054 0003B7A9
	s_nop 0                                                    // 00000000F8EC: BF800000
	v_cndmask_b32_e64 v8, v225, v8, s[84:85]                   // 00000000F8F0: D1000008 015211E1
	v_add_u32_e32 v169, 0x41, v168                             // 00000000F8F8: 695350FF 00000041
	v_cmp_lt_u32_e64 s[84:85], v169, v219                      // 00000000F900: D0C90054 0003B7A9
	s_nop 0                                                    // 00000000F908: BF800000
	v_cndmask_b32_e64 v9, v225, v9, s[84:85]                   // 00000000F90C: D1000009 015213E1
	v_add_u32_e32 v169, 0x42, v168                             // 00000000F914: 695350FF 00000042
	v_cmp_lt_u32_e64 s[84:85], v169, v219                      // 00000000F91C: D0C90054 0003B7A9
	s_nop 0                                                    // 00000000F924: BF800000
	v_cndmask_b32_e64 v10, v225, v10, s[84:85]                 // 00000000F928: D100000A 015215E1
	v_add_u32_e32 v169, 0x43, v168                             // 00000000F930: 695350FF 00000043
	v_cmp_lt_u32_e64 s[84:85], v169, v219                      // 00000000F938: D0C90054 0003B7A9
	s_nop 0                                                    // 00000000F940: BF800000
	v_cndmask_b32_e64 v11, v225, v11, s[84:85]                 // 00000000F944: D100000B 015217E1
	v_add_u32_e32 v169, 0x80, v168                             // 00000000F94C: 695350FF 00000080
	v_cmp_lt_u32_e64 s[84:85], v169, v219                      // 00000000F954: D0C90054 0003B7A9
	s_nop 0                                                    // 00000000F95C: BF800000
	v_cndmask_b32_e64 v12, v225, v12, s[84:85]                 // 00000000F960: D100000C 015219E1
	v_add_u32_e32 v169, 0x81, v168                             // 00000000F968: 695350FF 00000081
	v_cmp_lt_u32_e64 s[84:85], v169, v219                      // 00000000F970: D0C90054 0003B7A9
	s_nop 0                                                    // 00000000F978: BF800000
	v_cndmask_b32_e64 v13, v225, v13, s[84:85]                 // 00000000F97C: D100000D 01521BE1
	v_add_u32_e32 v169, 0x82, v168                             // 00000000F984: 695350FF 00000082
	v_cmp_lt_u32_e64 s[84:85], v169, v219                      // 00000000F98C: D0C90054 0003B7A9
	s_nop 0                                                    // 00000000F994: BF800000
	v_cndmask_b32_e64 v14, v225, v14, s[84:85]                 // 00000000F998: D100000E 01521DE1
	v_add_u32_e32 v169, 0x83, v168                             // 00000000F9A0: 695350FF 00000083
	v_cmp_lt_u32_e64 s[84:85], v169, v219                      // 00000000F9A8: D0C90054 0003B7A9
	s_nop 0                                                    // 00000000F9B0: BF800000
	v_cndmask_b32_e64 v15, v225, v15, s[84:85]                 // 00000000F9B4: D100000F 01521FE1
	v_add_u32_e32 v169, 0xc0, v168                             // 00000000F9BC: 695350FF 000000C0
	v_cmp_lt_u32_e64 s[84:85], v169, v219                      // 00000000F9C4: D0C90054 0003B7A9
	s_nop 0                                                    // 00000000F9CC: BF800000
	v_cndmask_b32_e64 v16, v225, v16, s[84:85]                 // 00000000F9D0: D1000010 015221E1
	v_add_u32_e32 v169, 0xc1, v168                             // 00000000F9D8: 695350FF 000000C1
	v_cmp_lt_u32_e64 s[84:85], v169, v219                      // 00000000F9E0: D0C90054 0003B7A9
	s_nop 0                                                    // 00000000F9E8: BF800000
	v_cndmask_b32_e64 v17, v225, v17, s[84:85]                 // 00000000F9EC: D1000011 015223E1
	v_add_u32_e32 v169, 0xc2, v168                             // 00000000F9F4: 695350FF 000000C2
	v_cmp_lt_u32_e64 s[84:85], v169, v219                      // 00000000F9FC: D0C90054 0003B7A9
	s_nop 0                                                    // 00000000FA04: BF800000
	v_cndmask_b32_e64 v18, v225, v18, s[84:85]                 // 00000000FA08: D1000012 015225E1
	v_add_u32_e32 v169, 0xc3, v168                             // 00000000FA10: 695350FF 000000C3
	v_cmp_lt_u32_e64 s[84:85], v169, v219                      // 00000000FA18: D0C90054 0003B7A9
	s_nop 0                                                    // 00000000FA20: BF800000
	v_cndmask_b32_e64 v19, v225, v19, s[84:85]                 // 00000000FA24: D1000013 015227E1
	v_add_u32_e32 v169, 0, v168                                // 00000000FA2C: 69535080
	v_cmp_lt_u32_e64 s[84:85], v169, v220                      // 00000000FA30: D0C90054 0003B9A9
	s_nop 0                                                    // 00000000FA38: BF800000
	v_cndmask_b32_e64 v20, v225, v20, s[84:85]                 // 00000000FA3C: D1000014 015229E1
	v_add_u32_e32 v169, 1, v168                                // 00000000FA44: 69535081
	v_cmp_lt_u32_e64 s[84:85], v169, v220                      // 00000000FA48: D0C90054 0003B9A9
	s_nop 0                                                    // 00000000FA50: BF800000
	v_cndmask_b32_e64 v21, v225, v21, s[84:85]                 // 00000000FA54: D1000015 01522BE1
	v_add_u32_e32 v169, 2, v168                                // 00000000FA5C: 69535082
	v_cmp_lt_u32_e64 s[84:85], v169, v220                      // 00000000FA60: D0C90054 0003B9A9
	s_nop 0                                                    // 00000000FA68: BF800000
	v_cndmask_b32_e64 v22, v225, v22, s[84:85]                 // 00000000FA6C: D1000016 01522DE1
	v_add_u32_e32 v169, 3, v168                                // 00000000FA74: 69535083
	v_cmp_lt_u32_e64 s[84:85], v169, v220                      // 00000000FA78: D0C90054 0003B9A9
	s_nop 0                                                    // 00000000FA80: BF800000
	v_cndmask_b32_e64 v23, v225, v23, s[84:85]                 // 00000000FA84: D1000017 01522FE1
	v_add_u32_e32 v169, 64, v168                               // 00000000FA8C: 695350C0
	v_cmp_lt_u32_e64 s[84:85], v169, v220                      // 00000000FA90: D0C90054 0003B9A9
	s_nop 0                                                    // 00000000FA98: BF800000
	v_cndmask_b32_e64 v24, v225, v24, s[84:85]                 // 00000000FA9C: D1000018 015231E1
	v_add_u32_e32 v169, 0x41, v168                             // 00000000FAA4: 695350FF 00000041
	v_cmp_lt_u32_e64 s[84:85], v169, v220                      // 00000000FAAC: D0C90054 0003B9A9
	s_nop 0                                                    // 00000000FAB4: BF800000
	v_cndmask_b32_e64 v25, v225, v25, s[84:85]                 // 00000000FAB8: D1000019 015233E1
	v_add_u32_e32 v169, 0x42, v168                             // 00000000FAC0: 695350FF 00000042
	v_cmp_lt_u32_e64 s[84:85], v169, v220                      // 00000000FAC8: D0C90054 0003B9A9
	s_nop 0                                                    // 00000000FAD0: BF800000
	v_cndmask_b32_e64 v26, v225, v26, s[84:85]                 // 00000000FAD4: D100001A 015235E1
	v_add_u32_e32 v169, 0x43, v168                             // 00000000FADC: 695350FF 00000043
	v_cmp_lt_u32_e64 s[84:85], v169, v220                      // 00000000FAE4: D0C90054 0003B9A9
	s_nop 0                                                    // 00000000FAEC: BF800000
	v_cndmask_b32_e64 v27, v225, v27, s[84:85]                 // 00000000FAF0: D100001B 015237E1
	v_add_u32_e32 v169, 0x80, v168                             // 00000000FAF8: 695350FF 00000080
	v_cmp_lt_u32_e64 s[84:85], v169, v220                      // 00000000FB00: D0C90054 0003B9A9
	s_nop 0                                                    // 00000000FB08: BF800000
	v_cndmask_b32_e64 v28, v225, v28, s[84:85]                 // 00000000FB0C: D100001C 015239E1
	v_add_u32_e32 v169, 0x81, v168                             // 00000000FB14: 695350FF 00000081
	v_cmp_lt_u32_e64 s[84:85], v169, v220                      // 00000000FB1C: D0C90054 0003B9A9
	s_nop 0                                                    // 00000000FB24: BF800000
	v_cndmask_b32_e64 v29, v225, v29, s[84:85]                 // 00000000FB28: D100001D 01523BE1
	v_add_u32_e32 v169, 0x82, v168                             // 00000000FB30: 695350FF 00000082
	v_cmp_lt_u32_e64 s[84:85], v169, v220                      // 00000000FB38: D0C90054 0003B9A9
	s_nop 0                                                    // 00000000FB40: BF800000
	v_cndmask_b32_e64 v30, v225, v30, s[84:85]                 // 00000000FB44: D100001E 01523DE1
	v_add_u32_e32 v169, 0x83, v168                             // 00000000FB4C: 695350FF 00000083
	v_cmp_lt_u32_e64 s[84:85], v169, v220                      // 00000000FB54: D0C90054 0003B9A9
	s_nop 0                                                    // 00000000FB5C: BF800000
	v_cndmask_b32_e64 v31, v225, v31, s[84:85]                 // 00000000FB60: D100001F 01523FE1
	v_add_u32_e32 v169, 0xc0, v168                             // 00000000FB68: 695350FF 000000C0
	v_cmp_lt_u32_e64 s[84:85], v169, v220                      // 00000000FB70: D0C90054 0003B9A9
	s_nop 0                                                    // 00000000FB78: BF800000
	v_cndmask_b32_e64 v32, v225, v32, s[84:85]                 // 00000000FB7C: D1000020 015241E1
	v_add_u32_e32 v169, 0xc1, v168                             // 00000000FB84: 695350FF 000000C1
	v_cmp_lt_u32_e64 s[84:85], v169, v220                      // 00000000FB8C: D0C90054 0003B9A9
	s_nop 0                                                    // 00000000FB94: BF800000
	v_cndmask_b32_e64 v33, v225, v33, s[84:85]                 // 00000000FB98: D1000021 015243E1
	v_add_u32_e32 v169, 0xc2, v168                             // 00000000FBA0: 695350FF 000000C2
	v_cmp_lt_u32_e64 s[84:85], v169, v220                      // 00000000FBA8: D0C90054 0003B9A9
	s_nop 0                                                    // 00000000FBB0: BF800000
	v_cndmask_b32_e64 v34, v225, v34, s[84:85]                 // 00000000FBB4: D1000022 015245E1
	v_add_u32_e32 v169, 0xc3, v168                             // 00000000FBBC: 695350FF 000000C3
	v_cmp_lt_u32_e64 s[84:85], v169, v220                      // 00000000FBC4: D0C90054 0003B9A9
	s_nop 0                                                    // 00000000FBCC: BF800000
	v_cndmask_b32_e64 v35, v225, v35, s[84:85]                 // 00000000FBD0: D1000023 015247E1
	v_add_u32_e32 v168, s49, v223                              // 00000000FBD8: 6951BE31
	v_add_u32_e32 v169, 0, v168                                // 00000000FBDC: 69535080
	v_cmp_lt_u32_e64 s[84:85], v169, v221                      // 00000000FBE0: D0C90054 0003BBA9
	s_nop 0                                                    // 00000000FBE8: BF800000
	v_cndmask_b32_e64 v36, v225, v36, s[84:85]                 // 00000000FBEC: D1000024 015249E1
	v_add_u32_e32 v169, 1, v168                                // 00000000FBF4: 69535081
	v_cmp_lt_u32_e64 s[84:85], v169, v221                      // 00000000FBF8: D0C90054 0003BBA9
	s_nop 0                                                    // 00000000FC00: BF800000
	v_cndmask_b32_e64 v37, v225, v37, s[84:85]                 // 00000000FC04: D1000025 01524BE1
	v_add_u32_e32 v169, 2, v168                                // 00000000FC0C: 69535082
	v_cmp_lt_u32_e64 s[84:85], v169, v221                      // 00000000FC10: D0C90054 0003BBA9
	s_nop 0                                                    // 00000000FC18: BF800000
	v_cndmask_b32_e64 v38, v225, v38, s[84:85]                 // 00000000FC1C: D1000026 01524DE1
	v_add_u32_e32 v169, 3, v168                                // 00000000FC24: 69535083
	v_cmp_lt_u32_e64 s[84:85], v169, v221                      // 00000000FC28: D0C90054 0003BBA9
	s_nop 0                                                    // 00000000FC30: BF800000
	v_cndmask_b32_e64 v39, v225, v39, s[84:85]                 // 00000000FC34: D1000027 01524FE1
	v_add_u32_e32 v169, 64, v168                               // 00000000FC3C: 695350C0
	v_cmp_lt_u32_e64 s[84:85], v169, v221                      // 00000000FC40: D0C90054 0003BBA9
	s_nop 0                                                    // 00000000FC48: BF800000
	v_cndmask_b32_e64 v40, v225, v40, s[84:85]                 // 00000000FC4C: D1000028 015251E1
	v_add_u32_e32 v169, 0x41, v168                             // 00000000FC54: 695350FF 00000041
	v_cmp_lt_u32_e64 s[84:85], v169, v221                      // 00000000FC5C: D0C90054 0003BBA9
	s_nop 0                                                    // 00000000FC64: BF800000
	v_cndmask_b32_e64 v41, v225, v41, s[84:85]                 // 00000000FC68: D1000029 015253E1
	v_add_u32_e32 v169, 0x42, v168                             // 00000000FC70: 695350FF 00000042
	v_cmp_lt_u32_e64 s[84:85], v169, v221                      // 00000000FC78: D0C90054 0003BBA9
	s_nop 0                                                    // 00000000FC80: BF800000
	v_cndmask_b32_e64 v42, v225, v42, s[84:85]                 // 00000000FC84: D100002A 015255E1
	v_add_u32_e32 v169, 0x43, v168                             // 00000000FC8C: 695350FF 00000043
	v_cmp_lt_u32_e64 s[84:85], v169, v221                      // 00000000FC94: D0C90054 0003BBA9
	s_nop 0                                                    // 00000000FC9C: BF800000
	v_cndmask_b32_e64 v43, v225, v43, s[84:85]                 // 00000000FCA0: D100002B 015257E1
	v_mov_b32_e32 v190, v36                                    // 00000000FCA8: 7F7C0324
	v_max3_f32 v190, v36, v37, v190                            // 00000000FCAC: D1D300BE 06FA4B24
	v_max3_f32 v190, v38, v39, v190                            // 00000000FCB4: D1D300BE 06FA4F26
	v_max3_f32 v190, v40, v41, v190                            // 00000000FCBC: D1D300BE 06FA5328
	v_max3_f32 v190, v42, v43, v190                            // 00000000FCC4: D1D300BE 06FA572A
	v_mov_b32_e32 v189, v20                                    // 00000000FCCC: 7F7A0314
	v_max3_f32 v189, v20, v21, v189                            // 00000000FCD0: D1D300BD 06F62B14
	v_max3_f32 v189, v22, v23, v189                            // 00000000FCD8: D1D300BD 06F62F16
	v_max3_f32 v189, v24, v25, v189                            // 00000000FCE0: D1D300BD 06F63318
	v_max3_f32 v189, v26, v27, v189                            // 00000000FCE8: D1D300BD 06F6371A
	v_max3_f32 v189, v28, v29, v189                            // 00000000FCF0: D1D300BD 06F63B1C
	v_max3_f32 v189, v30, v31, v189                            // 00000000FCF8: D1D300BD 06F63F1E
	v_max3_f32 v189, v32, v33, v189                            // 00000000FD00: D1D300BD 06F64320
	v_max3_f32 v189, v34, v35, v189                            // 00000000FD08: D1D300BD 06F64722
	v_mov_b32_e32 v188, v4                                     // 00000000FD10: 7F780304
	v_max3_f32 v188, v4, v5, v188                              // 00000000FD14: D1D300BC 06F20B04
	v_max3_f32 v188, v6, v7, v188                              // 00000000FD1C: D1D300BC 06F20F06
	v_max3_f32 v188, v8, v9, v188                              // 00000000FD24: D1D300BC 06F21308
	v_max3_f32 v188, v10, v11, v188                            // 00000000FD2C: D1D300BC 06F2170A
	v_max3_f32 v188, v12, v13, v188                            // 00000000FD34: D1D300BC 06F21B0C
	v_max3_f32 v188, v14, v15, v188                            // 00000000FD3C: D1D300BC 06F21F0E
	v_max3_f32 v188, v16, v17, v188                            // 00000000FD44: D1D300BC 06F22310
	v_max3_f32 v188, v18, v19, v188                            // 00000000FD4C: D1D300BC 06F22712
	v_max_f32_dpp v190, v190, v190 row_ror:8 row_mask:0xf bank_mask:0xf// 00000000FD54: 177D7CFA FF0128BE
	ds_bpermute_b32 v172, v212, v188                           // 00000000FD5C: D87E0000 AC00BCD4
	ds_bpermute_b32 v173, v213, v188                           // 00000000FD64: D87E0000 AD00BCD5
	ds_bpermute_b32 v174, v214, v188                           // 00000000FD6C: D87E0000 AE00BCD6
	ds_bpermute_b32 v175, v212, v189                           // 00000000FD74: D87E0000 AF00BDD4
	ds_bpermute_b32 v176, v213, v189                           // 00000000FD7C: D87E0000 B000BDD5
	ds_bpermute_b32 v177, v214, v189                           // 00000000FD84: D87E0000 B100BDD6
	ds_bpermute_b32 v178, v212, v190                           // 00000000FD8C: D87E0000 B200BED4
	ds_bpermute_b32 v179, v213, v190                           // 00000000FD94: D87E0000 B300BED5
	ds_bpermute_b32 v180, v214, v190                           // 00000000FD9C: D87E0000 B400BED6
	v_pk_mul_f32 v[124:125], v[200:201], v[124:125]            // 00000000FDA4: D3B1407C 1802F9C8
	v_pk_mul_f32 v[126:127], v[200:201], v[126:127]            // 00000000FDAC: D3B1407E 1802FDC8
	v_pk_mul_f32 v[128:129], v[200:201], v[128:129]            // 00000000FDB4: D3B14080 180301C8
	v_pk_mul_f32 v[130:131], v[200:201], v[130:131]            // 00000000FDBC: D3B14082 180305C8
	v_pk_mul_f32 v[132:133], v[202:203], v[132:133]            // 00000000FDC4: D3B14084 180309CA
	v_pk_mul_f32 v[134:135], v[202:203], v[134:135]            // 00000000FDCC: D3B14086 18030DCA
	v_pk_mul_f32 v[136:137], v[202:203], v[136:137]            // 00000000FDD4: D3B14088 180311CA
	v_pk_mul_f32 v[138:139], v[202:203], v[138:139]            // 00000000FDDC: D3B1408A 180315CA
	v_pk_mul_f32 v[140:141], v[204:205], v[140:141]            // 00000000FDE4: D3B1408C 180319CC
	v_pk_mul_f32 v[142:143], v[204:205], v[142:143]            // 00000000FDEC: D3B1408E 18031DCC
	v_pk_mul_f32 v[144:145], v[204:205], v[144:145]            // 00000000FDF4: D3B14090 180321CC
	v_pk_mul_f32 v[146:147], v[204:205], v[146:147]            // 00000000FDFC: D3B14092 180325CC
	s_waitcnt lgkmcnt(6)                                       // 00000000FE04: BF8CC67F
	v_max3_f32 v188, v172, v173, v188                          // 00000000FE08: D1D300BC 06F35BAC
	v_max_f32_e32 v188, v174, v188                             // 00000000FE10: 177979AE
	s_waitcnt lgkmcnt(3)                                       // 00000000FE14: BF8CC37F
	v_max3_f32 v189, v175, v176, v189                          // 00000000FE18: D1D300BD 06F761AF
	v_max_f32_e32 v189, v177, v189                             // 00000000FE20: 177B7BB1
	s_waitcnt lgkmcnt(0)                                       // 00000000FE24: BF8CC07F
	v_max3_f32 v190, v178, v179, v190                          // 00000000FE28: D1D300BE 06FB67B2
	v_max_f32_e32 v190, v180, v190                             // 00000000FE30: 177D7DB4
	ds_write_b128 v246, v[188:191]                             // 00000000FE34: D9BE0000 0000BCF6
	s_waitcnt lgkmcnt(0)                                       // 00000000FE3C: BF8CC07F
	s_barrier                                                  // 00000000FE40: BF8A0000
	ds_read_b128 v[172:175], v247                              // 00000000FE44: D9FE0000 AC0000F7
	ds_read_b128 v[176:179], v247 offset:256                   // 00000000FE4C: D9FE0100 B00000F7
	ds_read_b128 v[180:183], v247 offset:512                   // 00000000FE54: D9FE0200 B40000F7
	ds_read_b128 v[184:187], v247 offset:768                   // 00000000FE5C: D9FE0300 B80000F7
	v_pk_mul_f32 v[100:101], v[158:159], v[100:101]            // 00000000FE64: D3B14064 1802C99E
	v_pk_mul_f32 v[102:103], v[158:159], v[102:103]            // 00000000FE6C: D3B14066 1802CD9E
	v_pk_mul_f32 v[104:105], v[158:159], v[104:105]            // 00000000FE74: D3B14068 1802D19E
	v_pk_mul_f32 v[106:107], v[158:159], v[106:107]            // 00000000FE7C: D3B1406A 1802D59E
	v_pk_mul_f32 v[108:109], v[160:161], v[108:109]            // 00000000FE84: D3B1406C 1802D9A0
	v_pk_mul_f32 v[110:111], v[160:161], v[110:111]            // 00000000FE8C: D3B1406E 1802DDA0
	v_pk_mul_f32 v[112:113], v[160:161], v[112:113]            // 00000000FE94: D3B14070 1802E1A0
	v_pk_mul_f32 v[114:115], v[160:161], v[114:115]            // 00000000FE9C: D3B14072 1802E5A0
	v_pk_mul_f32 v[116:117], v[162:163], v[116:117]            // 00000000FEA4: D3B14074 1802E9A2
	v_pk_mul_f32 v[118:119], v[162:163], v[118:119]            // 00000000FEAC: D3B14076 1802EDA2
	v_pk_mul_f32 v[120:121], v[162:163], v[120:121]            // 00000000FEB4: D3B14078 1802F1A2
	v_pk_mul_f32 v[122:123], v[162:163], v[122:123]            // 00000000FEBC: D3B1407A 1802F5A2
	s_waitcnt lgkmcnt(0)                                       // 00000000FEC4: BF8CC07F
	v_max3_f32 v188, v172, v176, v188                          // 00000000FEC8: D1D300BC 06F361AC
	v_max3_f32 v189, v173, v177, v189                          // 00000000FED0: D1D300BD 06F763AD
	v_max3_f32 v190, v174, v178, v190                          // 00000000FED8: D1D300BE 06FB65AE
	v_max3_f32 v188, v180, v184, v188                          // 00000000FEE0: D1D300BC 06F371B4
	v_max3_f32 v189, v181, v185, v189                          // 00000000FEE8: D1D300BD 06F773B5
	v_max3_f32 v190, v182, v186, v190                          // 00000000FEF0: D1D300BE 06FB75B6
	v_max_f32_e32 v197, v188, v194                             // 00000000FEF8: 178B85BC
	v_mul_f32_e64 v168, -s51, v197                             // 00000000FEFC: D10500A8 20038A33
	v_mov_b32_e32 v169, v168                                   // 00000000FF04: 7F5203A8
	v_pk_fma_f32 v[4:5], v[4:5], s[86:87], v[168:169]          // 00000000FF08: D3B04004 1EA0AD04
	v_pk_fma_f32 v[6:7], v[6:7], s[86:87], v[168:169]          // 00000000FF10: D3B04006 1EA0AD06
	v_exp_f32_e32 v4, v4                                       // 00000000FF18: 7E084104
	v_exp_f32_e32 v5, v5                                       // 00000000FF1C: 7E0A4105
	v_exp_f32_e32 v6, v6                                       // 00000000FF20: 7E0C4106
	v_exp_f32_e32 v7, v7                                       // 00000000FF24: 7E0E4107
	v_pk_fma_f32 v[8:9], v[8:9], s[86:87], v[168:169]          // 00000000FF28: D3B04008 1EA0AD08
	v_pk_fma_f32 v[10:11], v[10:11], s[86:87], v[168:169]      // 00000000FF30: D3B0400A 1EA0AD0A
	v_exp_f32_e32 v8, v8                                       // 00000000FF38: 7E104108
	v_exp_f32_e32 v9, v9                                       // 00000000FF3C: 7E124109
	v_exp_f32_e32 v10, v10                                     // 00000000FF40: 7E14410A
	v_exp_f32_e32 v11, v11                                     // 00000000FF44: 7E16410B
	v_pk_fma_f32 v[12:13], v[12:13], s[86:87], v[168:169]      // 00000000FF48: D3B0400C 1EA0AD0C
	v_pk_fma_f32 v[14:15], v[14:15], s[86:87], v[168:169]      // 00000000FF50: D3B0400E 1EA0AD0E
	v_exp_f32_e32 v12, v12                                     // 00000000FF58: 7E18410C
	v_exp_f32_e32 v13, v13                                     // 00000000FF5C: 7E1A410D
	v_exp_f32_e32 v14, v14                                     // 00000000FF60: 7E1C410E
	v_exp_f32_e32 v15, v15                                     // 00000000FF64: 7E1E410F
	v_pk_fma_f32 v[16:17], v[16:17], s[86:87], v[168:169]      // 00000000FF68: D3B04010 1EA0AD10
	v_pk_fma_f32 v[18:19], v[18:19], s[86:87], v[168:169]      // 00000000FF70: D3B04012 1EA0AD12
	v_exp_f32_e32 v16, v16                                     // 00000000FF78: 7E204110
	v_exp_f32_e32 v17, v17                                     // 00000000FF7C: 7E224111
	v_exp_f32_e32 v18, v18                                     // 00000000FF80: 7E244112
	v_exp_f32_e32 v19, v19                                     // 00000000FF84: 7E264113
	v_max_f32_e32 v198, v189, v195                             // 00000000FF88: 178D87BD
	v_mul_f32_e64 v168, -s51, v198                             // 00000000FF8C: D10500A8 20038C33
	v_mov_b32_e32 v169, v168                                   // 00000000FF94: 7F5203A8
	v_pk_fma_f32 v[20:21], v[20:21], s[86:87], v[168:169]      // 00000000FF98: D3B04014 1EA0AD14
	v_pk_fma_f32 v[22:23], v[22:23], s[86:87], v[168:169]      // 00000000FFA0: D3B04016 1EA0AD16
	v_exp_f32_e32 v20, v20                                     // 00000000FFA8: 7E284114
	v_exp_f32_e32 v21, v21                                     // 00000000FFAC: 7E2A4115
	v_exp_f32_e32 v22, v22                                     // 00000000FFB0: 7E2C4116
	v_exp_f32_e32 v23, v23                                     // 00000000FFB4: 7E2E4117
	v_pk_fma_f32 v[24:25], v[24:25], s[86:87], v[168:169]      // 00000000FFB8: D3B04018 1EA0AD18
	v_pk_fma_f32 v[26:27], v[26:27], s[86:87], v[168:169]      // 00000000FFC0: D3B0401A 1EA0AD1A
	v_exp_f32_e32 v24, v24                                     // 00000000FFC8: 7E304118
	v_exp_f32_e32 v25, v25                                     // 00000000FFCC: 7E324119
	v_exp_f32_e32 v26, v26                                     // 00000000FFD0: 7E34411A
	v_exp_f32_e32 v27, v27                                     // 00000000FFD4: 7E36411B
	v_pk_fma_f32 v[28:29], v[28:29], s[86:87], v[168:169]      // 00000000FFD8: D3B0401C 1EA0AD1C
	v_pk_fma_f32 v[30:31], v[30:31], s[86:87], v[168:169]      // 00000000FFE0: D3B0401E 1EA0AD1E
	v_exp_f32_e32 v28, v28                                     // 00000000FFE8: 7E38411C
	v_exp_f32_e32 v29, v29                                     // 00000000FFEC: 7E3A411D
	v_exp_f32_e32 v30, v30                                     // 00000000FFF0: 7E3C411E
	v_exp_f32_e32 v31, v31                                     // 00000000FFF4: 7E3E411F
	v_pk_fma_f32 v[32:33], v[32:33], s[86:87], v[168:169]      // 00000000FFF8: D3B04020 1EA0AD20
	v_pk_fma_f32 v[34:35], v[34:35], s[86:87], v[168:169]      // 000000010000: D3B04022 1EA0AD22
	v_exp_f32_e32 v32, v32                                     // 000000010008: 7E404120
	v_exp_f32_e32 v33, v33                                     // 00000001000C: 7E424121
	v_exp_f32_e32 v34, v34                                     // 000000010010: 7E444122
	v_exp_f32_e32 v35, v35                                     // 000000010014: 7E464123
	v_max_f32_e32 v199, v190, v196                             // 000000010018: 178F89BE
	v_mul_f32_e64 v168, -s51, v199                             // 00000001001C: D10500A8 20038E33
	v_mov_b32_e32 v169, v168                                   // 000000010024: 7F5203A8
	v_pk_fma_f32 v[36:37], v[36:37], s[86:87], v[168:169]      // 000000010028: D3B04024 1EA0AD24
	v_pk_fma_f32 v[38:39], v[38:39], s[86:87], v[168:169]      // 000000010030: D3B04026 1EA0AD26
	v_exp_f32_e32 v36, v36                                     // 000000010038: 7E484124
	v_exp_f32_e32 v37, v37                                     // 00000001003C: 7E4A4125
	v_exp_f32_e32 v38, v38                                     // 000000010040: 7E4C4126
	v_exp_f32_e32 v39, v39                                     // 000000010044: 7E4E4127
	v_pk_fma_f32 v[40:41], v[40:41], s[86:87], v[168:169]      // 000000010048: D3B04028 1EA0AD28
	v_pk_fma_f32 v[42:43], v[42:43], s[86:87], v[168:169]      // 000000010050: D3B0402A 1EA0AD2A
	v_exp_f32_e32 v40, v40                                     // 000000010058: 7E504128
	v_exp_f32_e32 v41, v41                                     // 00000001005C: 7E524129
	v_exp_f32_e32 v42, v42                                     // 000000010060: 7E54412A
	v_exp_f32_e32 v43, v43                                     // 000000010064: 7E56412B
	v_mul_f32_dpp v52, v157, v4 row_newbcast:0 row_mask:0xf bank_mask:0xf// 000000010068: 0A6808FA FF01509D
	v_mul_f32_dpp v53, v157, v5 row_newbcast:1 row_mask:0xf bank_mask:0xf// 000000010070: 0A6A0AFA FF01519D
	v_mul_f32_dpp v54, v157, v6 row_newbcast:2 row_mask:0xf bank_mask:0xf// 000000010078: 0A6C0CFA FF01529D
	v_mul_f32_dpp v55, v157, v7 row_newbcast:3 row_mask:0xf bank_mask:0xf// 000000010080: 0A6E0EFA FF01539D
	v_mul_f32_dpp v56, v157, v8 row_newbcast:4 row_mask:0xf bank_mask:0xf// 000000010088: 0A7010FA FF01549D
	v_mul_f32_dpp v57, v157, v9 row_newbcast:5 row_mask:0xf bank_mask:0xf// 000000010090: 0A7212FA FF01559D
	v_mul_f32_dpp v58, v157, v10 row_newbcast:6 row_mask:0xf bank_mask:0xf// 000000010098: 0A7414FA FF01569D
	v_mul_f32_dpp v59, v157, v11 row_newbcast:7 row_mask:0xf bank_mask:0xf// 0000000100A0: 0A7616FA FF01579D
	v_mul_f32_dpp v60, v157, v12 row_newbcast:8 row_mask:0xf bank_mask:0xf// 0000000100A8: 0A7818FA FF01589D
	v_mul_f32_dpp v61, v157, v13 row_newbcast:9 row_mask:0xf bank_mask:0xf// 0000000100B0: 0A7A1AFA FF01599D
	v_mul_f32_dpp v62, v157, v14 row_newbcast:10 row_mask:0xf bank_mask:0xf// 0000000100B8: 0A7C1CFA FF015A9D
	v_mul_f32_dpp v63, v157, v15 row_newbcast:11 row_mask:0xf bank_mask:0xf// 0000000100C0: 0A7E1EFA FF015B9D
	v_mul_f32_dpp v64, v157, v16 row_newbcast:12 row_mask:0xf bank_mask:0xf// 0000000100C8: 0A8020FA FF015C9D
	v_mul_f32_dpp v65, v157, v17 row_newbcast:13 row_mask:0xf bank_mask:0xf// 0000000100D0: 0A8222FA FF015D9D
	v_mul_f32_dpp v66, v157, v18 row_newbcast:14 row_mask:0xf bank_mask:0xf// 0000000100D8: 0A8424FA FF015E9D
	v_mul_f32_dpp v67, v157, v19 row_newbcast:15 row_mask:0xf bank_mask:0xf// 0000000100E0: 0A8626FA FF015F9D
	v_mul_f32_dpp v68, v157, v20 row_newbcast:0 row_mask:0xf bank_mask:0xf// 0000000100E8: 0A8828FA FF01509D
	v_mul_f32_dpp v69, v157, v21 row_newbcast:1 row_mask:0xf bank_mask:0xf// 0000000100F0: 0A8A2AFA FF01519D
	v_mul_f32_dpp v70, v157, v22 row_newbcast:2 row_mask:0xf bank_mask:0xf// 0000000100F8: 0A8C2CFA FF01529D
	v_mul_f32_dpp v71, v157, v23 row_newbcast:3 row_mask:0xf bank_mask:0xf// 000000010100: 0A8E2EFA FF01539D
	v_mul_f32_dpp v72, v157, v24 row_newbcast:4 row_mask:0xf bank_mask:0xf// 000000010108: 0A9030FA FF01549D
	v_mul_f32_dpp v73, v157, v25 row_newbcast:5 row_mask:0xf bank_mask:0xf// 000000010110: 0A9232FA FF01559D
	v_mul_f32_dpp v74, v157, v26 row_newbcast:6 row_mask:0xf bank_mask:0xf// 000000010118: 0A9434FA FF01569D
	v_mul_f32_dpp v75, v157, v27 row_newbcast:7 row_mask:0xf bank_mask:0xf// 000000010120: 0A9636FA FF01579D
	v_mul_f32_dpp v76, v157, v28 row_newbcast:8 row_mask:0xf bank_mask:0xf// 000000010128: 0A9838FA FF01589D
	v_mul_f32_dpp v77, v157, v29 row_newbcast:9 row_mask:0xf bank_mask:0xf// 000000010130: 0A9A3AFA FF01599D
	v_mul_f32_dpp v78, v157, v30 row_newbcast:10 row_mask:0xf bank_mask:0xf// 000000010138: 0A9C3CFA FF015A9D
	v_mul_f32_dpp v79, v157, v31 row_newbcast:11 row_mask:0xf bank_mask:0xf// 000000010140: 0A9E3EFA FF015B9D
	v_mul_f32_dpp v80, v157, v32 row_newbcast:12 row_mask:0xf bank_mask:0xf// 000000010148: 0AA040FA FF015C9D
	v_mul_f32_dpp v81, v157, v33 row_newbcast:13 row_mask:0xf bank_mask:0xf// 000000010150: 0AA242FA FF015D9D
	v_mul_f32_dpp v82, v157, v34 row_newbcast:14 row_mask:0xf bank_mask:0xf// 000000010158: 0AA444FA FF015E9D
	v_mul_f32_dpp v83, v157, v35 row_newbcast:15 row_mask:0xf bank_mask:0xf// 000000010160: 0AA646FA FF015F9D
	v_mul_f32_dpp v84, v166, v36 quad_perm:[0,0,0,0] row_mask:0xf bank_mask:0xf// 000000010168: 0AA848FA FF0000A6
	v_mul_f32_dpp v85, v166, v37 quad_perm:[1,1,1,1] row_mask:0xf bank_mask:0xf// 000000010170: 0AAA4AFA FF0055A6
	v_mul_f32_dpp v86, v166, v38 quad_perm:[2,2,2,2] row_mask:0xf bank_mask:0xf// 000000010178: 0AAC4CFA FF00AAA6
	v_mul_f32_dpp v87, v166, v39 quad_perm:[3,3,3,3] row_mask:0xf bank_mask:0xf// 000000010180: 0AAE4EFA FF00FFA6
	v_mul_f32_dpp v88, v167, v40 quad_perm:[0,0,0,0] row_mask:0xf bank_mask:0xf// 000000010188: 0AB050FA FF0000A7
	v_mul_f32_dpp v89, v167, v41 quad_perm:[1,1,1,1] row_mask:0xf bank_mask:0xf// 000000010190: 0AB252FA FF0055A7
	v_mul_f32_dpp v90, v167, v42 quad_perm:[2,2,2,2] row_mask:0xf bank_mask:0xf// 000000010198: 0AB454FA FF00AAA7
	v_mul_f32_dpp v91, v167, v43 quad_perm:[3,3,3,3] row_mask:0xf bank_mask:0xf// 0000000101A0: 0AB656FA FF00FFA7
	v_mov_b32_e32 v190, 0x358637bd                             // 0000000101A8: 7F7C02FF 358637BD
	v_max3_f32 v190, |v84|, |v85|, v190                        // 0000000101B0: D1D303BE 06FAAB54
	v_max3_f32 v190, |v86|, |v87|, v190                        // 0000000101B8: D1D303BE 06FAAF56
	v_max3_f32 v190, |v88|, |v89|, v190                        // 0000000101C0: D1D303BE 06FAB358
	v_max3_f32 v190, |v90|, |v91|, v190                        // 0000000101C8: D1D303BE 06FAB75A
	v_mov_b32_e32 v189, 0x358637bd                             // 0000000101D0: 7F7A02FF 358637BD
	v_max3_f32 v189, |v68|, |v69|, v189                        // 0000000101D8: D1D303BD 06F68B44
	v_max3_f32 v189, |v70|, |v71|, v189                        // 0000000101E0: D1D303BD 06F68F46
	v_max3_f32 v189, |v72|, |v73|, v189                        // 0000000101E8: D1D303BD 06F69348
	v_max3_f32 v189, |v74|, |v75|, v189                        // 0000000101F0: D1D303BD 06F6974A
	v_max3_f32 v189, |v76|, |v77|, v189                        // 0000000101F8: D1D303BD 06F69B4C
	v_max3_f32 v189, |v78|, |v79|, v189                        // 000000010200: D1D303BD 06F69F4E
	v_max3_f32 v189, |v80|, |v81|, v189                        // 000000010208: D1D303BD 06F6A350
	v_max3_f32 v189, |v82|, |v83|, v189                        // 000000010210: D1D303BD 06F6A752
	v_mov_b32_e32 v188, 0x358637bd                             // 000000010218: 7F7802FF 358637BD
	v_max3_f32 v188, |v52|, |v53|, v188                        // 000000010220: D1D303BC 06F26B34
	v_max3_f32 v188, |v54|, |v55|, v188                        // 000000010228: D1D303BC 06F26F36
	v_max3_f32 v188, |v56|, |v57|, v188                        // 000000010230: D1D303BC 06F27338
	v_max3_f32 v188, |v58|, |v59|, v188                        // 000000010238: D1D303BC 06F2773A
	v_max3_f32 v188, |v60|, |v61|, v188                        // 000000010240: D1D303BC 06F27B3C
	v_max3_f32 v188, |v62|, |v63|, v188                        // 000000010248: D1D303BC 06F27F3E
	v_max3_f32 v188, |v64|, |v65|, v188                        // 000000010250: D1D303BC 06F28340
	v_max3_f32 v188, |v66|, |v67|, v188                        // 000000010258: D1D303BC 06F28742
	v_max_f32_dpp v190, v190, v190 row_ror:8 row_mask:0xf bank_mask:0xf// 000000010260: 177D7CFA FF0128BE
	ds_bpermute_b32 v172, v212, v188                           // 000000010268: D87E0000 AC00BCD4
	ds_bpermute_b32 v173, v213, v188                           // 000000010270: D87E0000 AD00BCD5
	ds_bpermute_b32 v174, v214, v188                           // 000000010278: D87E0000 AE00BCD6
	ds_bpermute_b32 v175, v212, v189                           // 000000010280: D87E0000 AF00BDD4
	ds_bpermute_b32 v176, v213, v189                           // 000000010288: D87E0000 B000BDD5
	ds_bpermute_b32 v177, v214, v189                           // 000000010290: D87E0000 B100BDD6
	ds_bpermute_b32 v178, v212, v190                           // 000000010298: D87E0000 B200BED4
	ds_bpermute_b32 v179, v213, v190                           // 0000000102A0: D87E0000 B300BED5
	ds_bpermute_b32 v180, v214, v190                           // 0000000102A8: D87E0000 B400BED6
	s_waitcnt lgkmcnt(6)                                       // 0000000102B0: BF8CC67F
	v_max3_f32 v188, v172, v173, v188                          // 0000000102B4: D1D300BC 06F35BAC
	v_max_f32_e32 v188, v174, v188                             // 0000000102BC: 177979AE
	s_waitcnt lgkmcnt(3)                                       // 0000000102C0: BF8CC37F
	v_max3_f32 v189, v175, v176, v189                          // 0000000102C4: D1D300BD 06F761AF
	v_max_f32_e32 v189, v177, v189                             // 0000000102CC: 177B7BB1
	s_waitcnt lgkmcnt(0)                                       // 0000000102D0: BF8CC07F
	v_max3_f32 v190, v178, v179, v190                          // 0000000102D4: D1D300BE 06FB67B2
	v_max_f32_e32 v190, v180, v190                             // 0000000102DC: 177D7DB4
	ds_write_b128 v246, v[188:191] offset:4096                 // 0000000102E0: D9BE1000 0000BCF6
	buffer_load_dword v154, v238, s[28:31], 0 offen            // 0000000102E8: E0501000 80079AEE
	v_sub_f32_e32 v200, v194, v197                             // 0000000102F0: 05918BC2
	v_cmp_eq_u32_e64 s[84:85], v225, v194                      // 0000000102F4: D0CA0054 000385E1
	v_cndmask_b32_e64 v200, v200, 0, s[84:85]                  // 0000000102FC: D10000C8 015101C8
	v_mov_b32_e32 v194, v197                                   // 000000010304: 7F8403C5
	v_mul_f32_e32 v200, s51, v200                              // 000000010308: 0B919033
	v_exp_f32_e32 v200, v200                                   // 00000001030C: 7F9041C8
	v_sub_f32_e32 v202, v195, v198                             // 000000010310: 05958DC3
	v_cmp_eq_u32_e64 s[84:85], v225, v195                      // 000000010314: D0CA0054 000387E1
	v_cndmask_b32_e64 v202, v202, 0, s[84:85]                  // 00000001031C: D10000CA 015101CA
	v_mov_b32_e32 v195, v198                                   // 000000010324: 7F8603C6
	v_mul_f32_e32 v202, s51, v202                              // 000000010328: 0B959433
	v_exp_f32_e32 v202, v202                                   // 00000001032C: 7F9441CA
	v_sub_f32_e32 v204, v196, v199                             // 000000010330: 05998FC4
	v_cmp_eq_u32_e64 s[84:85], v225, v196                      // 000000010334: D0CA0054 000389E1
	v_cndmask_b32_e64 v204, v204, 0, s[84:85]                  // 00000001033C: D10000CC 015101CC
	v_mov_b32_e32 v196, v199                                   // 000000010344: 7F8803C7
	v_mul_f32_e32 v204, s51, v204                              // 000000010348: 0B999833
	v_exp_f32_e32 v204, v204                                   // 00000001034C: 7F9841CC
	v_mov_b32_e32 v201, v200                                   // 000000010350: 7F9203C8
	v_mov_b32_e32 v203, v202                                   // 000000010354: 7F9603CA
	v_mov_b32_e32 v205, v204                                   // 000000010358: 7F9A03CC
	s_waitcnt lgkmcnt(0)                                       // 00000001035C: BF8CC07F
	s_barrier                                                  // 000000010360: BF8A0000
	ds_read_b128 v[172:175], v247 offset:4096                  // 000000010364: D9FE1000 AC0000F7
	ds_read_b128 v[176:179], v247 offset:4352                  // 00000001036C: D9FE1100 B00000F7
	ds_read_b128 v[180:183], v247 offset:4608                  // 000000010374: D9FE1200 B40000F7
	ds_read_b128 v[184:187], v247 offset:4864                  // 00000001037C: D9FE1300 B80000F7
	buffer_load_dword v156, v239, s[32:35], 0 offen            // 000000010384: E0501000 80089CEF
	v_mul_f32_e32 v206, v200, v206                             // 00000001038C: 0B9D9DC8
	v_mov_b32_e32 v207, 0                                      // 000000010390: 7F9E0280
	v_pk_add_f32 v[206:207], v[4:5], v[206:207]                // 000000010394: D3B240CE 18039D04
	v_pk_add_f32 v[206:207], v[6:7], v[206:207]                // 00000001039C: D3B240CE 18039D06
	v_pk_add_f32 v[206:207], v[8:9], v[206:207]                // 0000000103A4: D3B240CE 18039D08
	v_pk_add_f32 v[206:207], v[10:11], v[206:207]              // 0000000103AC: D3B240CE 18039D0A
	v_pk_add_f32 v[206:207], v[12:13], v[206:207]              // 0000000103B4: D3B240CE 18039D0C
	v_pk_add_f32 v[206:207], v[14:15], v[206:207]              // 0000000103BC: D3B240CE 18039D0E
	v_pk_add_f32 v[206:207], v[16:17], v[206:207]              // 0000000103C4: D3B240CE 18039D10
	v_pk_add_f32 v[206:207], v[18:19], v[206:207]              // 0000000103CC: D3B240CE 18039D12
	v_add_f32_e32 v206, v207, v206                             // 0000000103D4: 039D9DCF
	v_mul_f32_e32 v208, v202, v208                             // 0000000103D8: 0BA1A1CA
	v_mov_b32_e32 v209, 0                                      // 0000000103DC: 7FA20280
	v_pk_add_f32 v[208:209], v[20:21], v[208:209]              // 0000000103E0: D3B240D0 1803A114
	v_pk_add_f32 v[208:209], v[22:23], v[208:209]              // 0000000103E8: D3B240D0 1803A116
	v_pk_add_f32 v[208:209], v[24:25], v[208:209]              // 0000000103F0: D3B240D0 1803A118
	v_pk_add_f32 v[208:209], v[26:27], v[208:209]              // 0000000103F8: D3B240D0 1803A11A
	v_pk_add_f32 v[208:209], v[28:29], v[208:209]              // 000000010400: D3B240D0 1803A11C
	v_pk_add_f32 v[208:209], v[30:31], v[208:209]              // 000000010408: D3B240D0 1803A11E
	v_pk_add_f32 v[208:209], v[32:33], v[208:209]              // 000000010410: D3B240D0 1803A120
	v_pk_add_f32 v[208:209], v[34:35], v[208:209]              // 000000010418: D3B240D0 1803A122
	v_add_f32_e32 v208, v209, v208                             // 000000010420: 03A1A1D1
	v_mul_f32_e32 v210, v204, v210                             // 000000010424: 0BA5A5CC
	v_mov_b32_e32 v211, 0                                      // 000000010428: 7FA60280
	v_pk_add_f32 v[210:211], v[36:37], v[210:211]              // 00000001042C: D3B240D2 1803A524
	v_pk_add_f32 v[210:211], v[38:39], v[210:211]              // 000000010434: D3B240D2 1803A526
	v_pk_add_f32 v[210:211], v[40:41], v[210:211]              // 00000001043C: D3B240D2 1803A528
	v_pk_add_f32 v[210:211], v[42:43], v[210:211]              // 000000010444: D3B240D2 1803A52A
	v_add_f32_e32 v210, v211, v210                             // 00000001044C: 03A5A5D3
	s_waitcnt lgkmcnt(0)                                       // 000000010450: BF8CC07F
	v_max3_f32 v188, v172, v176, v188                          // 000000010454: D1D300BC 06F361AC
	v_max3_f32 v189, v173, v177, v189                          // 00000001045C: D1D300BD 06F763AD
	v_max3_f32 v190, v174, v178, v190                          // 000000010464: D1D300BE 06FB65AE
	v_max3_f32 v188, v180, v184, v188                          // 00000001046C: D1D300BC 06F371B4
	v_max3_f32 v189, v181, v185, v189                          // 000000010474: D1D300BD 06F773B5
	v_max3_f32 v190, v182, v186, v190                          // 00000001047C: D1D300BE 06FB75B6
	v_rcp_f32_e32 v188, v188                                   // 000000010484: 7F7845BC
	v_rcp_f32_e32 v189, v189                                   // 000000010488: 7F7A45BD
	v_rcp_f32_e32 v190, v190                                   // 00000001048C: 7F7C45BE
	v_mul_f32_e32 v188, 0x43700000, v188                       // 000000010490: 0B7978FF 43700000
	v_mul_f32_e32 v189, 0x43700000, v189                       // 000000010498: 0B7B7AFF 43700000
	v_mul_f32_e32 v190, 0x43700000, v190                       // 0000000104A0: 0B7D7CFF 43700000
	v_mov_b32_e32 v192, v190                                   // 0000000104A8: 7F8003BE
	v_mov_b32_e32 v193, v190                                   // 0000000104AC: 7F8203BE
	v_mov_b32_e32 v190, v189                                   // 0000000104B0: 7F7C03BD
	v_mov_b32_e32 v191, v189                                   // 0000000104B4: 7F7E03BD
	v_mov_b32_e32 v189, v188                                   // 0000000104B8: 7F7A03BC
	v_pk_mul_f32 v[4:5], v[188:189], v[52:53]                  // 0000000104BC: D3B14004 180269BC
	v_pk_mul_f32 v[6:7], v[188:189], v[54:55]                  // 0000000104C4: D3B14006 18026DBC
	v_pk_mul_f32 v[8:9], v[188:189], v[56:57]                  // 0000000104CC: D3B14008 180271BC
	v_pk_mul_f32 v[10:11], v[188:189], v[58:59]                // 0000000104D4: D3B1400A 180275BC
	v_pk_mul_f32 v[12:13], v[188:189], v[60:61]                // 0000000104DC: D3B1400C 180279BC
	v_pk_mul_f32 v[14:15], v[188:189], v[62:63]                // 0000000104E4: D3B1400E 18027DBC
	v_pk_mul_f32 v[16:17], v[188:189], v[64:65]                // 0000000104EC: D3B14010 180281BC
	v_pk_mul_f32 v[18:19], v[188:189], v[66:67]                // 0000000104F4: D3B14012 180285BC
	v_pk_mul_f32 v[20:21], v[190:191], v[68:69]                // 0000000104FC: D3B14014 180289BE
	v_pk_mul_f32 v[22:23], v[190:191], v[70:71]                // 000000010504: D3B14016 18028DBE
	v_pk_mul_f32 v[24:25], v[190:191], v[72:73]                // 00000001050C: D3B14018 180291BE
	v_pk_mul_f32 v[26:27], v[190:191], v[74:75]                // 000000010514: D3B1401A 180295BE
	v_pk_mul_f32 v[28:29], v[190:191], v[76:77]                // 00000001051C: D3B1401C 180299BE
	v_pk_mul_f32 v[30:31], v[190:191], v[78:79]                // 000000010524: D3B1401E 18029DBE
	v_pk_mul_f32 v[32:33], v[190:191], v[80:81]                // 00000001052C: D3B14020 1802A1BE
	v_pk_mul_f32 v[34:35], v[190:191], v[82:83]                // 000000010534: D3B14022 1802A5BE
	v_pk_mul_f32 v[36:37], v[192:193], v[84:85]                // 00000001053C: D3B14024 1802A9C0
	v_pk_mul_f32 v[38:39], v[192:193], v[86:87]                // 000000010544: D3B14026 1802ADC0
	v_pk_mul_f32 v[40:41], v[192:193], v[88:89]                // 00000001054C: D3B14028 1802B1C0
	v_pk_mul_f32 v[42:43], v[192:193], v[90:91]                // 000000010554: D3B1402A 1802B5C0
	v_cvt_pk_fp8_f32 v4, v4, v5                                // 00000001055C: D2A20004 00020B04
	v_cvt_pk_fp8_f32 v4, v6, v7 op_sel:[0,0,1]                 // 000000010564: D2A24004 00020F06
	v_cvt_pk_fp8_f32 v5, v8, v9                                // 00000001056C: D2A20005 00021308
	v_cvt_pk_fp8_f32 v5, v10, v11 op_sel:[0,0,1]               // 000000010574: D2A24005 0002170A
	v_cvt_pk_fp8_f32 v6, v12, v13                              // 00000001057C: D2A20006 00021B0C
	v_cvt_pk_fp8_f32 v6, v14, v15 op_sel:[0,0,1]               // 000000010584: D2A24006 00021F0E
	v_cvt_pk_fp8_f32 v7, v16, v17                              // 00000001058C: D2A20007 00022310
	v_cvt_pk_fp8_f32 v7, v18, v19 op_sel:[0,0,1]               // 000000010594: D2A24007 00022712
	v_cvt_pk_fp8_f32 v8, v20, v21                              // 00000001059C: D2A20008 00022B14
	v_cvt_pk_fp8_f32 v8, v22, v23 op_sel:[0,0,1]               // 0000000105A4: D2A24008 00022F16
	v_cvt_pk_fp8_f32 v9, v24, v25                              // 0000000105AC: D2A20009 00023318
	v_cvt_pk_fp8_f32 v9, v26, v27 op_sel:[0,0,1]               // 0000000105B4: D2A24009 0002371A
	v_cvt_pk_fp8_f32 v10, v28, v29                             // 0000000105BC: D2A2000A 00023B1C
	v_cvt_pk_fp8_f32 v10, v30, v31 op_sel:[0,0,1]              // 0000000105C4: D2A2400A 00023F1E
	v_cvt_pk_fp8_f32 v11, v32, v33                             // 0000000105CC: D2A2000B 00024320
	v_cvt_pk_fp8_f32 v11, v34, v35 op_sel:[0,0,1]              // 0000000105D4: D2A2400B 00024722
	v_cvt_pk_fp8_f32 v12, v36, v37                             // 0000000105DC: D2A2000C 00024B24
	v_cvt_pk_fp8_f32 v12, v38, v39 op_sel:[0,0,1]              // 0000000105E4: D2A2400C 00024F26
	v_cvt_pk_fp8_f32 v13, v40, v41                             // 0000000105EC: D2A2000D 00025328
	v_cvt_pk_fp8_f32 v13, v42, v43 op_sel:[0,0,1]              // 0000000105F4: D2A2400D 0002572A
	v_mov_b32_dpp v14, v12 row_shl:8 row_mask:0xf bank_mask:0xf bound_ctrl:1// 0000000105FC: 7E1C02FA FF09080C
	v_and_b32_e32 v12, v12, v224                               // 000000010604: 2619C10C
	v_mov_b32_dpp v15, v13 row_shl:8 row_mask:0xf bank_mask:0xf bound_ctrl:1// 000000010608: 7E1E02FA FF09080D
	v_and_b32_e32 v13, v13, v224                               // 000000010610: 261BC10D
	ds_write_b32 v248, v4 offset:8192                          // 000000010614: D81A2000 000004F8
	ds_write_b32 v248, v5 offset:9216                          // 00000001061C: D81A2400 000005F8
	ds_write_b32 v248, v6 offset:10240                         // 000000010624: D81A2800 000006F8
	ds_write_b32 v248, v7 offset:11264                         // 00000001062C: D81A2C00 000007F8
	ds_write_b32 v248, v8 offset:12288                         // 000000010634: D81A3000 000008F8
	ds_write_b32 v248, v9 offset:13312                         // 00000001063C: D81A3400 000009F8
	ds_write_b32 v248, v10 offset:14336                        // 000000010644: D81A3800 00000AF8
	ds_write_b32 v248, v11 offset:15360                        // 00000001064C: D81A3C00 00000BF8
	ds_write_b32 v248, v12 offset:16384                        // 000000010654: D81A4000 00000CF8
	ds_write_b32 v248, v13 offset:17408                        // 00000001065C: D81A4400 00000DF8
	ds_write_b32 v248, v14 offset:18432                        // 000000010664: D81A4800 00000EF8
	ds_write_b32 v248, v15 offset:19456                        // 00000001066C: D81A4C00 00000FF8
	v_rcp_f32_e32 v158, v188                                   // 000000010674: 7F3C45BC
	v_rcp_f32_e32 v160, v190                                   // 000000010678: 7F4045BE
	v_rcp_f32_e32 v162, v192                                   // 00000001067C: 7F4445C0
	v_mov_b32_e32 v159, v158                                   // 000000010680: 7F3E039E
	v_mov_b32_e32 v161, v160                                   // 000000010684: 7F4203A0
	v_mov_b32_e32 v163, v162                                   // 000000010688: 7F4603A2
	v_pk_add_f32 v[124:125], v[124:125], v[100:101]            // 00000001068C: D3B2407C 1802C97C
	v_pk_add_f32 v[126:127], v[126:127], v[102:103]            // 000000010694: D3B2407E 1802CD7E
	v_pk_add_f32 v[128:129], v[128:129], v[104:105]            // 00000001069C: D3B24080 1802D180
	v_pk_add_f32 v[130:131], v[130:131], v[106:107]            // 0000000106A4: D3B24082 1802D582
	v_pk_add_f32 v[132:133], v[132:133], v[108:109]            // 0000000106AC: D3B24084 1802D984
	v_pk_add_f32 v[134:135], v[134:135], v[110:111]            // 0000000106B4: D3B24086 1802DD86
	v_pk_add_f32 v[136:137], v[136:137], v[112:113]            // 0000000106BC: D3B24088 1802E188
	v_pk_add_f32 v[138:139], v[138:139], v[114:115]            // 0000000106C4: D3B2408A 1802E58A
	v_pk_add_f32 v[140:141], v[140:141], v[116:117]            // 0000000106CC: D3B2408C 1802E98C
	v_pk_add_f32 v[142:143], v[142:143], v[118:119]            // 0000000106D4: D3B2408E 1802ED8E
	v_pk_add_f32 v[144:145], v[144:145], v[120:121]            // 0000000106DC: D3B24090 1802F190
	v_pk_add_f32 v[146:147], v[146:147], v[122:123]            // 0000000106E4: D3B24092 1802F592
	s_waitcnt lgkmcnt(0)                                       // 0000000106EC: BF8CC07F
	s_barrier                                                  // 0000000106F0: BF8A0000
	ds_read_b128 v[4:7], v249 offset:8192                      // 0000000106F4: D9FE2000 040000F9
	ds_read_b128 v[8:11], v249 offset:9216                     // 0000000106FC: D9FE2400 080000F9
	ds_read_b128 v[12:15], v249 offset:10240                   // 000000010704: D9FE2800 0C0000F9
	ds_read_b128 v[16:19], v249 offset:11264                   // 00000001070C: D9FE2C00 100000F9
	ds_read_b128 v[20:23], v249 offset:12288                   // 000000010714: D9FE3000 140000F9
	ds_read_b128 v[24:27], v249 offset:13312                   // 00000001071C: D9FE3400 180000F9
	ds_read_b128 v[28:31], v249 offset:14336                   // 000000010724: D9FE3800 1C0000F9
	ds_read_b128 v[32:35], v249 offset:15360                   // 00000001072C: D9FE3C00 200000F9
	ds_read_b128 v[36:39], v249 offset:16384                   // 000000010734: D9FE4000 240000F9
	ds_read_b128 v[40:43], v249 offset:17408                   // 00000001073C: D9FE4400 280000F9
	ds_read_b128 v[44:47], v249 offset:18432                   // 000000010744: D9FE4800 2C0000F9
	ds_read_b128 v[48:51], v249 offset:19456                   // 00000001074C: D9FE4C00 300000F9
	s_waitcnt vmcnt(10)                                        // 000000010754: BF8C0F7A
	s_waitcnt lgkmcnt(11)                                      // 000000010758: BF8CCB7F
	v_mfma_f32_16x16x32_fp8_fp8 v[100:103], a[120:121], v[4:5], 0// 00000001075C: D3F30064 0A020978
	v_mfma_f32_16x16x32_fp8_fp8 v[104:107], a[136:137], v[4:5], 0// 000000010764: D3F30068 0A020988
	v_mfma_f32_16x16x32_fp8_fp8 v[100:103], a[122:123], v[6:7], v[100:103]// 00000001076C: D3F30064 0D920D7A
	buffer_load_dwordx4 a[88:91], v234, s[16:19], 0 offen      // 000000010774: E05C1000 808458EA
	v_mfma_f32_16x16x32_fp8_fp8 v[104:107], a[138:139], v[6:7], v[104:107]// 00000001077C: D3F30068 0DA20D8A
	s_waitcnt lgkmcnt(10)                                      // 000000010784: BF8CCA7F
	v_mfma_f32_16x16x32_fp8_fp8 v[100:103], a[124:125], v[8:9], v[100:103]// 000000010788: D3F30064 0D92117C
	v_mfma_f32_16x16x32_fp8_fp8 v[104:107], a[140:141], v[8:9], v[104:107]// 000000010790: D3F30068 0DA2118C
	v_mfma_f32_16x16x32_fp8_fp8 v[100:103], a[126:127], v[10:11], v[100:103]// 000000010798: D3F30064 0D92157E
	buffer_load_dwordx4 a[92:95], v235, s[16:19], 0 offen      // 0000000107A0: E05C1000 80845CEB
	v_mfma_f32_16x16x32_fp8_fp8 v[104:107], a[142:143], v[10:11], v[104:107]// 0000000107A8: D3F30068 0DA2158E
	s_waitcnt lgkmcnt(9)                                       // 0000000107B0: BF8CC97F
	v_mfma_f32_16x16x32_fp8_fp8 v[100:103], a[128:129], v[12:13], v[100:103]// 0000000107B4: D3F30064 0D921980
	v_mfma_f32_16x16x32_fp8_fp8 v[104:107], a[144:145], v[12:13], v[104:107]// 0000000107BC: D3F30068 0DA21990
	v_mfma_f32_16x16x32_fp8_fp8 v[100:103], a[130:131], v[14:15], v[100:103]// 0000000107C4: D3F30064 0D921D82
	buffer_load_dwordx4 a[96:99], v236, s[16:19], 0 offen      // 0000000107CC: E05C1000 808460EC
	v_mfma_f32_16x16x32_fp8_fp8 v[104:107], a[146:147], v[14:15], v[104:107]// 0000000107D4: D3F30068 0DA21D92
	s_waitcnt lgkmcnt(8)                                       // 0000000107DC: BF8CC87F
	v_mfma_f32_16x16x32_fp8_fp8 v[100:103], a[132:133], v[16:17], v[100:103]// 0000000107E0: D3F30064 0D922184
	v_mfma_f32_16x16x32_fp8_fp8 v[104:107], a[148:149], v[16:17], v[104:107]// 0000000107E8: D3F30068 0DA22194
	v_mfma_f32_16x16x32_fp8_fp8 v[100:103], a[134:135], v[18:19], v[100:103]// 0000000107F0: D3F30064 0D922586
	buffer_load_dwordx4 a[100:103], v237, s[16:19], 0 offen    // 0000000107F8: E05C1000 808464ED
	v_mfma_f32_16x16x32_fp8_fp8 v[104:107], a[150:151], v[18:19], v[104:107]// 000000010800: D3F30068 0DA22596
	s_waitcnt lgkmcnt(7)                                       // 000000010808: BF8CC77F
	v_mfma_f32_16x16x32_fp8_fp8 v[108:111], a[120:121], v[20:21], 0// 00000001080C: D3F3006C 0A022978
	v_mfma_f32_16x16x32_fp8_fp8 v[112:115], a[136:137], v[20:21], 0// 000000010814: D3F30070 0A022988
	v_mfma_f32_16x16x32_fp8_fp8 v[108:111], a[122:123], v[22:23], v[108:111]// 00000001081C: D3F3006C 0DB22D7A
	buffer_load_dwordx4 a[104:107], v234, s[16:19], 0 offen offset:1024// 000000010824: E05C1400 808468EA
	v_mfma_f32_16x16x32_fp8_fp8 v[112:115], a[138:139], v[22:23], v[112:115]// 00000001082C: D3F30070 0DC22D8A
	s_waitcnt lgkmcnt(6)                                       // 000000010834: BF8CC67F
	v_mfma_f32_16x16x32_fp8_fp8 v[108:111], a[124:125], v[24:25], v[108:111]// 000000010838: D3F3006C 0DB2317C
	v_mfma_f32_16x16x32_fp8_fp8 v[112:115], a[140:141], v[24:25], v[112:115]// 000000010840: D3F30070 0DC2318C
	v_mfma_f32_16x16x32_fp8_fp8 v[108:111], a[126:127], v[26:27], v[108:111]// 000000010848: D3F3006C 0DB2357E
	buffer_load_dwordx4 a[108:111], v235, s[16:19], 0 offen offset:1024// 000000010850: E05C1400 80846CEB
	v_mfma_f32_16x16x32_fp8_fp8 v[112:115], a[142:143], v[26:27], v[112:115]// 000000010858: D3F30070 0DC2358E
	s_waitcnt lgkmcnt(5)                                       // 000000010860: BF8CC57F
	v_mfma_f32_16x16x32_fp8_fp8 v[108:111], a[128:129], v[28:29], v[108:111]// 000000010864: D3F3006C 0DB23980
	v_mfma_f32_16x16x32_fp8_fp8 v[112:115], a[144:145], v[28:29], v[112:115]// 00000001086C: D3F30070 0DC23990
	v_mfma_f32_16x16x32_fp8_fp8 v[108:111], a[130:131], v[30:31], v[108:111]// 000000010874: D3F3006C 0DB23D82
	buffer_load_dwordx4 a[112:115], v236, s[16:19], 0 offen offset:1024// 00000001087C: E05C1400 808470EC
	v_mfma_f32_16x16x32_fp8_fp8 v[112:115], a[146:147], v[30:31], v[112:115]// 000000010884: D3F30070 0DC23D92
	s_waitcnt lgkmcnt(4)                                       // 00000001088C: BF8CC47F
	v_mfma_f32_16x16x32_fp8_fp8 v[108:111], a[132:133], v[32:33], v[108:111]// 000000010890: D3F3006C 0DB24184
	v_mfma_f32_16x16x32_fp8_fp8 v[112:115], a[148:149], v[32:33], v[112:115]// 000000010898: D3F30070 0DC24194
	v_mfma_f32_16x16x32_fp8_fp8 v[108:111], a[134:135], v[34:35], v[108:111]// 0000000108A0: D3F3006C 0DB24586
	buffer_load_dwordx4 a[116:119], v237, s[16:19], 0 offen offset:1024// 0000000108A8: E05C1400 808474ED
	v_mfma_f32_16x16x32_fp8_fp8 v[112:115], a[150:151], v[34:35], v[112:115]// 0000000108B0: D3F30070 0DC24596
	s_waitcnt lgkmcnt(3)                                       // 0000000108B8: BF8CC37F
	v_mfma_f32_16x16x32_fp8_fp8 v[116:119], a[120:121], v[36:37], 0// 0000000108BC: D3F30074 0A024978
	v_mfma_f32_16x16x32_fp8_fp8 v[120:123], a[136:137], v[36:37], 0// 0000000108C4: D3F30078 0A024988
	v_mfma_f32_16x16x32_fp8_fp8 v[116:119], a[122:123], v[38:39], v[116:119]// 0000000108CC: D3F30074 0DD24D7A
	v_mfma_f32_16x16x32_fp8_fp8 v[120:123], a[138:139], v[38:39], v[120:123]// 0000000108D4: D3F30078 0DE24D8A
	s_waitcnt lgkmcnt(2)                                       // 0000000108DC: BF8CC27F
	v_mfma_f32_16x16x32_fp8_fp8 v[116:119], a[124:125], v[40:41], v[116:119]// 0000000108E0: D3F30074 0DD2517C
	v_mfma_f32_16x16x32_fp8_fp8 v[120:123], a[140:141], v[40:41], v[120:123]// 0000000108E8: D3F30078 0DE2518C
	v_mfma_f32_16x16x32_fp8_fp8 v[116:119], a[126:127], v[42:43], v[116:119]// 0000000108F0: D3F30074 0DD2557E
	v_mfma_f32_16x16x32_fp8_fp8 v[120:123], a[142:143], v[42:43], v[120:123]// 0000000108F8: D3F30078 0DE2558E
	s_waitcnt lgkmcnt(1)                                       // 000000010900: BF8CC17F
	v_mfma_f32_16x16x32_fp8_fp8 v[116:119], a[128:129], v[44:45], v[116:119]// 000000010904: D3F30074 0DD25980
	v_mfma_f32_16x16x32_fp8_fp8 v[120:123], a[144:145], v[44:45], v[120:123]// 00000001090C: D3F30078 0DE25990
	v_mfma_f32_16x16x32_fp8_fp8 v[116:119], a[130:131], v[46:47], v[116:119]// 000000010914: D3F30074 0DD25D82
	v_mfma_f32_16x16x32_fp8_fp8 v[120:123], a[146:147], v[46:47], v[120:123]// 00000001091C: D3F30078 0DE25D92
	s_waitcnt lgkmcnt(0)                                       // 000000010924: BF8CC07F
	v_mfma_f32_16x16x32_fp8_fp8 v[116:119], a[132:133], v[48:49], v[116:119]// 000000010928: D3F30074 0DD26184
	v_mfma_f32_16x16x32_fp8_fp8 v[120:123], a[148:149], v[48:49], v[120:123]// 000000010930: D3F30078 0DE26194
	v_mfma_f32_16x16x32_fp8_fp8 v[116:119], a[134:135], v[50:51], v[116:119]// 000000010938: D3F30074 0DD26586
	v_mfma_f32_16x16x32_fp8_fp8 v[120:123], a[150:151], v[50:51], v[120:123]// 000000010940: D3F30078 0DE26596
	s_addk_i32 s49, 0x100                                      // 000000010948: B7310100
	s_branch label_3A14                                        // 00000001094C: BF820000

0000000000010950 <label_3A14>:
	s_waitcnt vmcnt(10)                                        // 000000010950: BF8C0F7A
	v_mfma_f32_16x16x32_fp8_fp8 v[4:7], a[24:25], a[0:1], 0    // 000000010954: D3F30004 1A020118
	v_mfma_f32_16x16x32_fp8_fp8 v[4:7], a[26:27], a[2:3], v[4:7]// 00000001095C: D3F30004 1C12051A
	v_mfma_f32_16x16x32_fp8_fp8 v[4:7], a[28:29], a[4:5], v[4:7]// 000000010964: D3F30004 1C12091C
	v_mfma_f32_16x16x32_fp8_fp8 v[4:7], a[30:31], a[6:7], v[4:7]// 00000001096C: D3F30004 1C120D1E
	v_mfma_f32_16x16x32_fp8_fp8 v[8:11], a[32:33], a[0:1], 0   // 000000010974: D3F30008 1A020120
	v_mfma_f32_16x16x32_fp8_fp8 v[8:11], a[34:35], a[2:3], v[8:11]// 00000001097C: D3F30008 1C220522
	v_mfma_f32_16x16x32_fp8_fp8 v[8:11], a[36:37], a[4:5], v[8:11]// 000000010984: D3F30008 1C220924
	v_mfma_f32_16x16x32_fp8_fp8 v[8:11], a[38:39], a[6:7], v[8:11]// 00000001098C: D3F30008 1C220D26
	v_mfma_f32_16x16x32_fp8_fp8 v[12:15], a[40:41], a[0:1], 0  // 000000010994: D3F3000C 1A020128
	v_mfma_f32_16x16x32_fp8_fp8 v[12:15], a[42:43], a[2:3], v[12:15]// 00000001099C: D3F3000C 1C32052A
	v_mfma_f32_16x16x32_fp8_fp8 v[12:15], a[44:45], a[4:5], v[12:15]// 0000000109A4: D3F3000C 1C32092C
	v_mfma_f32_16x16x32_fp8_fp8 v[12:15], a[46:47], a[6:7], v[12:15]// 0000000109AC: D3F3000C 1C320D2E
	v_mfma_f32_16x16x32_fp8_fp8 v[16:19], a[48:49], a[0:1], 0  // 0000000109B4: D3F30010 1A020130
	v_mfma_f32_16x16x32_fp8_fp8 v[16:19], a[50:51], a[2:3], v[16:19]// 0000000109BC: D3F30010 1C420532
	v_mfma_f32_16x16x32_fp8_fp8 v[16:19], a[52:53], a[4:5], v[16:19]// 0000000109C4: D3F30010 1C420934
	v_mfma_f32_16x16x32_fp8_fp8 v[16:19], a[54:55], a[6:7], v[16:19]// 0000000109CC: D3F30010 1C420D36
	v_mfma_f32_16x16x32_fp8_fp8 v[20:23], a[24:25], a[8:9], 0  // 0000000109D4: D3F30014 1A021118
	v_mfma_f32_16x16x32_fp8_fp8 v[20:23], a[26:27], a[10:11], v[20:23]// 0000000109DC: D3F30014 1C52151A
	v_mfma_f32_16x16x32_fp8_fp8 v[20:23], a[28:29], a[12:13], v[20:23]// 0000000109E4: D3F30014 1C52191C
	v_mfma_f32_16x16x32_fp8_fp8 v[20:23], a[30:31], a[14:15], v[20:23]// 0000000109EC: D3F30014 1C521D1E
	v_mfma_f32_16x16x32_fp8_fp8 v[24:27], a[32:33], a[8:9], 0  // 0000000109F4: D3F30018 1A021120
	v_mfma_f32_16x16x32_fp8_fp8 v[24:27], a[34:35], a[10:11], v[24:27]// 0000000109FC: D3F30018 1C621522
	v_mfma_f32_16x16x32_fp8_fp8 v[24:27], a[36:37], a[12:13], v[24:27]// 000000010A04: D3F30018 1C621924
	v_mfma_f32_16x16x32_fp8_fp8 v[24:27], a[38:39], a[14:15], v[24:27]// 000000010A0C: D3F30018 1C621D26
	v_mfma_f32_16x16x32_fp8_fp8 v[28:31], a[40:41], a[8:9], 0  // 000000010A14: D3F3001C 1A021128
	v_mfma_f32_16x16x32_fp8_fp8 v[28:31], a[42:43], a[10:11], v[28:31]// 000000010A1C: D3F3001C 1C72152A
	v_mfma_f32_16x16x32_fp8_fp8 v[28:31], a[44:45], a[12:13], v[28:31]// 000000010A24: D3F3001C 1C72192C
	v_mfma_f32_16x16x32_fp8_fp8 v[28:31], a[46:47], a[14:15], v[28:31]// 000000010A2C: D3F3001C 1C721D2E
	v_mfma_f32_16x16x32_fp8_fp8 v[32:35], a[48:49], a[8:9], 0  // 000000010A34: D3F30020 1A021130
	v_mfma_f32_16x16x32_fp8_fp8 v[32:35], a[50:51], a[10:11], v[32:35]// 000000010A3C: D3F30020 1C821532
	v_mfma_f32_16x16x32_fp8_fp8 v[32:35], a[52:53], a[12:13], v[32:35]// 000000010A44: D3F30020 1C821934
	v_mfma_f32_16x16x32_fp8_fp8 v[32:35], a[54:55], a[14:15], v[32:35]// 000000010A4C: D3F30020 1C821D36
	v_mfma_f32_16x16x32_fp8_fp8 v[36:39], a[24:25], a[16:17], 0// 000000010A54: D3F30024 1A022118
	v_mfma_f32_16x16x32_fp8_fp8 v[36:39], a[26:27], a[18:19], v[36:39]// 000000010A5C: D3F30024 1C92251A
	v_mfma_f32_16x16x32_fp8_fp8 v[36:39], a[28:29], a[20:21], v[36:39]// 000000010A64: D3F30024 1C92291C
	v_mfma_f32_16x16x32_fp8_fp8 v[36:39], a[30:31], a[22:23], v[36:39]// 000000010A6C: D3F30024 1C922D1E
	v_mfma_f32_16x16x32_fp8_fp8 v[40:43], a[32:33], a[16:17], 0// 000000010A74: D3F30028 1A022120
	v_mfma_f32_16x16x32_fp8_fp8 v[40:43], a[34:35], a[18:19], v[40:43]// 000000010A7C: D3F30028 1CA22522
	v_mfma_f32_16x16x32_fp8_fp8 v[40:43], a[36:37], a[20:21], v[40:43]// 000000010A84: D3F30028 1CA22924
	v_mfma_f32_16x16x32_fp8_fp8 v[40:43], a[38:39], a[22:23], v[40:43]// 000000010A8C: D3F30028 1CA22D26
	v_mfma_f32_16x16x32_fp8_fp8 v[44:47], a[40:41], a[16:17], 0// 000000010A94: D3F3002C 1A022128
	v_mfma_f32_16x16x32_fp8_fp8 v[44:47], a[42:43], a[18:19], v[44:47]// 000000010A9C: D3F3002C 1CB2252A
	v_mfma_f32_16x16x32_fp8_fp8 v[44:47], a[44:45], a[20:21], v[44:47]// 000000010AA4: D3F3002C 1CB2292C
	v_mfma_f32_16x16x32_fp8_fp8 v[44:47], a[46:47], a[22:23], v[44:47]// 000000010AAC: D3F3002C 1CB22D2E
	v_mfma_f32_16x16x32_fp8_fp8 v[48:51], a[48:49], a[16:17], 0// 000000010AB4: D3F30030 1A022130
	v_mfma_f32_16x16x32_fp8_fp8 v[48:51], a[50:51], a[18:19], v[48:51]// 000000010ABC: D3F30030 1CC22532
	v_mfma_f32_16x16x32_fp8_fp8 v[48:51], a[52:53], a[20:21], v[48:51]// 000000010AC4: D3F30030 1CC22934
	v_mfma_f32_16x16x32_fp8_fp8 v[48:51], a[54:55], a[22:23], v[48:51]// 000000010ACC: D3F30030 1CC22D36
	s_waitcnt vmcnt(8)                                         // 000000010AD4: BF8C0F78
	v_or_b32_dpp v36, v44, v36 row_shr:8 row_mask:0xf bank_mask:0xf bound_ctrl:1// 000000010AD8: 284848FA FF09182C
	v_or_b32_dpp v37, v45, v37 row_shr:8 row_mask:0xf bank_mask:0xf bound_ctrl:1// 000000010AE0: 284A4AFA FF09182D
	v_or_b32_dpp v38, v46, v38 row_shr:8 row_mask:0xf bank_mask:0xf bound_ctrl:1// 000000010AE8: 284C4CFA FF09182E
	v_or_b32_dpp v39, v47, v39 row_shr:8 row_mask:0xf bank_mask:0xf bound_ctrl:1// 000000010AF0: 284E4EFA FF09182F
	v_or_b32_dpp v40, v48, v40 row_shr:8 row_mask:0xf bank_mask:0xf bound_ctrl:1// 000000010AF8: 285050FA FF091830
	v_or_b32_dpp v41, v49, v41 row_shr:8 row_mask:0xf bank_mask:0xf bound_ctrl:1// 000000010B00: 285252FA FF091831
	v_or_b32_dpp v42, v50, v42 row_shr:8 row_mask:0xf bank_mask:0xf bound_ctrl:1// 000000010B08: 285454FA FF091832
	v_or_b32_dpp v43, v51, v43 row_shr:8 row_mask:0xf bank_mask:0xf bound_ctrl:1// 000000010B10: 285656FA FF091833
	v_mov_b32_dpp v168, v154 row_shr:4 row_mask:0xf bank_mask:0xf// 000000010B18: 7F5002FA FF01149A
	v_mov_b32_dpp v169, v154 row_shl:4 row_mask:0xf bank_mask:0xf// 000000010B20: 7F5202FA FF01049A
	v_cndmask_b32_e64 v164, v154, v168, s[90:91]               // 000000010B28: D10000A4 016B519A
	v_cndmask_b32_e64 v165, v169, v154, s[90:91]               // 000000010B30: D10000A5 016B35A9
	v_mov_b32_dpp v168, v156 row_shr:4 row_mask:0xf bank_mask:0xf// 000000010B38: 7F5002FA FF01149C
	v_mov_b32_dpp v169, v156 row_shl:4 row_mask:0xf bank_mask:0xf// 000000010B40: 7F5202FA FF01049C
	v_cndmask_b32_e64 v166, v156, v168, s[90:91]               // 000000010B48: D10000A6 016B519C
	v_cndmask_b32_e64 v167, v169, v156, s[90:91]               // 000000010B50: D10000A7 016B39A9
	v_pk_mul_f32 v[4:5], v[148:149], v[4:5]                    // 000000010B58: D3B14004 18020994
	v_pk_mul_f32 v[6:7], v[148:149], v[6:7]                    // 000000010B60: D3B14006 18020D94
	v_pk_mul_f32 v[8:9], v[148:149], v[8:9]                    // 000000010B68: D3B14008 18021194
	v_pk_mul_f32 v[10:11], v[148:149], v[10:11]                // 000000010B70: D3B1400A 18021594
	v_pk_mul_f32 v[12:13], v[148:149], v[12:13]                // 000000010B78: D3B1400C 18021994
	v_pk_mul_f32 v[14:15], v[148:149], v[14:15]                // 000000010B80: D3B1400E 18021D94
	v_pk_mul_f32 v[16:17], v[148:149], v[16:17]                // 000000010B88: D3B14010 18022194
	v_pk_mul_f32 v[18:19], v[148:149], v[18:19]                // 000000010B90: D3B14012 18022594
	v_mul_f32_dpp v4, v154, v4 row_newbcast:0 row_mask:0xf bank_mask:0xf// 000000010B98: 0A0808FA FF01509A
	v_mul_f32_dpp v5, v154, v5 row_newbcast:1 row_mask:0xf bank_mask:0xf// 000000010BA0: 0A0A0AFA FF01519A
	v_mul_f32_dpp v6, v154, v6 row_newbcast:2 row_mask:0xf bank_mask:0xf// 000000010BA8: 0A0C0CFA FF01529A
	v_mul_f32_dpp v7, v154, v7 row_newbcast:3 row_mask:0xf bank_mask:0xf// 000000010BB0: 0A0E0EFA FF01539A
	v_mul_f32_dpp v8, v154, v8 row_newbcast:4 row_mask:0xf bank_mask:0xf// 000000010BB8: 0A1010FA FF01549A
	v_mul_f32_dpp v9, v154, v9 row_newbcast:5 row_mask:0xf bank_mask:0xf// 000000010BC0: 0A1212FA FF01559A
	v_mul_f32_dpp v10, v154, v10 row_newbcast:6 row_mask:0xf bank_mask:0xf// 000000010BC8: 0A1414FA FF01569A
	v_mul_f32_dpp v11, v154, v11 row_newbcast:7 row_mask:0xf bank_mask:0xf// 000000010BD0: 0A1616FA FF01579A
	v_mul_f32_dpp v12, v154, v12 row_newbcast:8 row_mask:0xf bank_mask:0xf// 000000010BD8: 0A1818FA FF01589A
	v_mul_f32_dpp v13, v154, v13 row_newbcast:9 row_mask:0xf bank_mask:0xf// 000000010BE0: 0A1A1AFA FF01599A
	v_mul_f32_dpp v14, v154, v14 row_newbcast:10 row_mask:0xf bank_mask:0xf// 000000010BE8: 0A1C1CFA FF015A9A
	v_mul_f32_dpp v15, v154, v15 row_newbcast:11 row_mask:0xf bank_mask:0xf// 000000010BF0: 0A1E1EFA FF015B9A
	v_mul_f32_dpp v16, v154, v16 row_newbcast:12 row_mask:0xf bank_mask:0xf// 000000010BF8: 0A2020FA FF015C9A
	v_mul_f32_dpp v17, v154, v17 row_newbcast:13 row_mask:0xf bank_mask:0xf// 000000010C00: 0A2222FA FF015D9A
	v_mul_f32_dpp v18, v154, v18 row_newbcast:14 row_mask:0xf bank_mask:0xf// 000000010C08: 0A2424FA FF015E9A
	v_mul_f32_dpp v19, v154, v19 row_newbcast:15 row_mask:0xf bank_mask:0xf// 000000010C10: 0A2626FA FF015F9A
	v_pk_mul_f32 v[20:21], v[150:151], v[20:21]                // 000000010C18: D3B14014 18022996
	v_pk_mul_f32 v[22:23], v[150:151], v[22:23]                // 000000010C20: D3B14016 18022D96
	v_pk_mul_f32 v[24:25], v[150:151], v[24:25]                // 000000010C28: D3B14018 18023196
	v_pk_mul_f32 v[26:27], v[150:151], v[26:27]                // 000000010C30: D3B1401A 18023596
	v_pk_mul_f32 v[28:29], v[150:151], v[28:29]                // 000000010C38: D3B1401C 18023996
	v_pk_mul_f32 v[30:31], v[150:151], v[30:31]                // 000000010C40: D3B1401E 18023D96
	v_pk_mul_f32 v[32:33], v[150:151], v[32:33]                // 000000010C48: D3B14020 18024196
	v_pk_mul_f32 v[34:35], v[150:151], v[34:35]                // 000000010C50: D3B14022 18024596
	v_mul_f32_dpp v20, v154, v20 row_newbcast:0 row_mask:0xf bank_mask:0xf// 000000010C58: 0A2828FA FF01509A
	v_mul_f32_dpp v21, v154, v21 row_newbcast:1 row_mask:0xf bank_mask:0xf// 000000010C60: 0A2A2AFA FF01519A
	v_mul_f32_dpp v22, v154, v22 row_newbcast:2 row_mask:0xf bank_mask:0xf// 000000010C68: 0A2C2CFA FF01529A
	v_mul_f32_dpp v23, v154, v23 row_newbcast:3 row_mask:0xf bank_mask:0xf// 000000010C70: 0A2E2EFA FF01539A
	v_mul_f32_dpp v24, v154, v24 row_newbcast:4 row_mask:0xf bank_mask:0xf// 000000010C78: 0A3030FA FF01549A
	v_mul_f32_dpp v25, v154, v25 row_newbcast:5 row_mask:0xf bank_mask:0xf// 000000010C80: 0A3232FA FF01559A
	v_mul_f32_dpp v26, v154, v26 row_newbcast:6 row_mask:0xf bank_mask:0xf// 000000010C88: 0A3434FA FF01569A
	v_mul_f32_dpp v27, v154, v27 row_newbcast:7 row_mask:0xf bank_mask:0xf// 000000010C90: 0A3636FA FF01579A
	v_mul_f32_dpp v28, v154, v28 row_newbcast:8 row_mask:0xf bank_mask:0xf// 000000010C98: 0A3838FA FF01589A
	v_mul_f32_dpp v29, v154, v29 row_newbcast:9 row_mask:0xf bank_mask:0xf// 000000010CA0: 0A3A3AFA FF01599A
	v_mul_f32_dpp v30, v154, v30 row_newbcast:10 row_mask:0xf bank_mask:0xf// 000000010CA8: 0A3C3CFA FF015A9A
	v_mul_f32_dpp v31, v154, v31 row_newbcast:11 row_mask:0xf bank_mask:0xf// 000000010CB0: 0A3E3EFA FF015B9A
	v_mul_f32_dpp v32, v154, v32 row_newbcast:12 row_mask:0xf bank_mask:0xf// 000000010CB8: 0A4040FA FF015C9A
	v_mul_f32_dpp v33, v154, v33 row_newbcast:13 row_mask:0xf bank_mask:0xf// 000000010CC0: 0A4242FA FF015D9A
	v_mul_f32_dpp v34, v154, v34 row_newbcast:14 row_mask:0xf bank_mask:0xf// 000000010CC8: 0A4444FA FF015E9A
	v_mul_f32_dpp v35, v154, v35 row_newbcast:15 row_mask:0xf bank_mask:0xf// 000000010CD0: 0A4646FA FF015F9A
	v_pk_mul_f32 v[36:37], v[152:153], v[36:37]                // 000000010CD8: D3B14024 18024998
	v_pk_mul_f32 v[38:39], v[152:153], v[38:39]                // 000000010CE0: D3B14026 18024D98
	v_pk_mul_f32 v[40:41], v[152:153], v[40:41]                // 000000010CE8: D3B14028 18025198
	v_pk_mul_f32 v[42:43], v[152:153], v[42:43]                // 000000010CF0: D3B1402A 18025598
	v_mul_f32_dpp v36, v164, v36 quad_perm:[0,0,0,0] row_mask:0xf bank_mask:0xf// 000000010CF8: 0A4848FA FF0000A4
	v_mul_f32_dpp v37, v164, v37 quad_perm:[1,1,1,1] row_mask:0xf bank_mask:0xf// 000000010D00: 0A4A4AFA FF0055A4
	v_mul_f32_dpp v38, v164, v38 quad_perm:[2,2,2,2] row_mask:0xf bank_mask:0xf// 000000010D08: 0A4C4CFA FF00AAA4
	v_mul_f32_dpp v39, v164, v39 quad_perm:[3,3,3,3] row_mask:0xf bank_mask:0xf// 000000010D10: 0A4E4EFA FF00FFA4
	v_mul_f32_dpp v40, v165, v40 quad_perm:[0,0,0,0] row_mask:0xf bank_mask:0xf// 000000010D18: 0A5050FA FF0000A5
	v_mul_f32_dpp v41, v165, v41 quad_perm:[1,1,1,1] row_mask:0xf bank_mask:0xf// 000000010D20: 0A5252FA FF0055A5
	v_mul_f32_dpp v42, v165, v42 quad_perm:[2,2,2,2] row_mask:0xf bank_mask:0xf// 000000010D28: 0A5454FA FF00AAA5
	v_mul_f32_dpp v43, v165, v43 quad_perm:[3,3,3,3] row_mask:0xf bank_mask:0xf// 000000010D30: 0A5656FA FF00FFA5
	v_add_u32_e32 v168, s49, v222                              // 000000010D38: 6951BC31
	v_add_u32_e32 v169, 0, v168                                // 000000010D3C: 69535080
	v_cmp_lt_u32_e64 s[84:85], v169, v219                      // 000000010D40: D0C90054 0003B7A9
	s_nop 0                                                    // 000000010D48: BF800000
	v_cndmask_b32_e64 v4, v225, v4, s[84:85]                   // 000000010D4C: D1000004 015209E1
	v_add_u32_e32 v169, 1, v168                                // 000000010D54: 69535081
	v_cmp_lt_u32_e64 s[84:85], v169, v219                      // 000000010D58: D0C90054 0003B7A9
	s_nop 0                                                    // 000000010D60: BF800000
	v_cndmask_b32_e64 v5, v225, v5, s[84:85]                   // 000000010D64: D1000005 01520BE1
	v_add_u32_e32 v169, 2, v168                                // 000000010D6C: 69535082
	v_cmp_lt_u32_e64 s[84:85], v169, v219                      // 000000010D70: D0C90054 0003B7A9
	s_nop 0                                                    // 000000010D78: BF800000
	v_cndmask_b32_e64 v6, v225, v6, s[84:85]                   // 000000010D7C: D1000006 01520DE1
	v_add_u32_e32 v169, 3, v168                                // 000000010D84: 69535083
	v_cmp_lt_u32_e64 s[84:85], v169, v219                      // 000000010D88: D0C90054 0003B7A9
	s_nop 0                                                    // 000000010D90: BF800000
	v_cndmask_b32_e64 v7, v225, v7, s[84:85]                   // 000000010D94: D1000007 01520FE1
	v_add_u32_e32 v169, 64, v168                               // 000000010D9C: 695350C0
	v_cmp_lt_u32_e64 s[84:85], v169, v219                      // 000000010DA0: D0C90054 0003B7A9
	s_nop 0                                                    // 000000010DA8: BF800000
	v_cndmask_b32_e64 v8, v225, v8, s[84:85]                   // 000000010DAC: D1000008 015211E1
	v_add_u32_e32 v169, 0x41, v168                             // 000000010DB4: 695350FF 00000041
	v_cmp_lt_u32_e64 s[84:85], v169, v219                      // 000000010DBC: D0C90054 0003B7A9
	s_nop 0                                                    // 000000010DC4: BF800000
	v_cndmask_b32_e64 v9, v225, v9, s[84:85]                   // 000000010DC8: D1000009 015213E1
	v_add_u32_e32 v169, 0x42, v168                             // 000000010DD0: 695350FF 00000042
	v_cmp_lt_u32_e64 s[84:85], v169, v219                      // 000000010DD8: D0C90054 0003B7A9
	s_nop 0                                                    // 000000010DE0: BF800000
	v_cndmask_b32_e64 v10, v225, v10, s[84:85]                 // 000000010DE4: D100000A 015215E1
	v_add_u32_e32 v169, 0x43, v168                             // 000000010DEC: 695350FF 00000043
	v_cmp_lt_u32_e64 s[84:85], v169, v219                      // 000000010DF4: D0C90054 0003B7A9
	s_nop 0                                                    // 000000010DFC: BF800000
	v_cndmask_b32_e64 v11, v225, v11, s[84:85]                 // 000000010E00: D100000B 015217E1
	v_add_u32_e32 v169, 0x80, v168                             // 000000010E08: 695350FF 00000080
	v_cmp_lt_u32_e64 s[84:85], v169, v219                      // 000000010E10: D0C90054 0003B7A9
	s_nop 0                                                    // 000000010E18: BF800000
	v_cndmask_b32_e64 v12, v225, v12, s[84:85]                 // 000000010E1C: D100000C 015219E1
	v_add_u32_e32 v169, 0x81, v168                             // 000000010E24: 695350FF 00000081
	v_cmp_lt_u32_e64 s[84:85], v169, v219                      // 000000010E2C: D0C90054 0003B7A9
	s_nop 0                                                    // 000000010E34: BF800000
	v_cndmask_b32_e64 v13, v225, v13, s[84:85]                 // 000000010E38: D100000D 01521BE1
	v_add_u32_e32 v169, 0x82, v168                             // 000000010E40: 695350FF 00000082
	v_cmp_lt_u32_e64 s[84:85], v169, v219                      // 000000010E48: D0C90054 0003B7A9
	s_nop 0                                                    // 000000010E50: BF800000
	v_cndmask_b32_e64 v14, v225, v14, s[84:85]                 // 000000010E54: D100000E 01521DE1
	v_add_u32_e32 v169, 0x83, v168                             // 000000010E5C: 695350FF 00000083
	v_cmp_lt_u32_e64 s[84:85], v169, v219                      // 000000010E64: D0C90054 0003B7A9
	s_nop 0                                                    // 000000010E6C: BF800000
	v_cndmask_b32_e64 v15, v225, v15, s[84:85]                 // 000000010E70: D100000F 01521FE1
	v_add_u32_e32 v169, 0xc0, v168                             // 000000010E78: 695350FF 000000C0
	v_cmp_lt_u32_e64 s[84:85], v169, v219                      // 000000010E80: D0C90054 0003B7A9
	s_nop 0                                                    // 000000010E88: BF800000
	v_cndmask_b32_e64 v16, v225, v16, s[84:85]                 // 000000010E8C: D1000010 015221E1
	v_add_u32_e32 v169, 0xc1, v168                             // 000000010E94: 695350FF 000000C1
	v_cmp_lt_u32_e64 s[84:85], v169, v219                      // 000000010E9C: D0C90054 0003B7A9
	s_nop 0                                                    // 000000010EA4: BF800000
	v_cndmask_b32_e64 v17, v225, v17, s[84:85]                 // 000000010EA8: D1000011 015223E1
	v_add_u32_e32 v169, 0xc2, v168                             // 000000010EB0: 695350FF 000000C2
	v_cmp_lt_u32_e64 s[84:85], v169, v219                      // 000000010EB8: D0C90054 0003B7A9
	s_nop 0                                                    // 000000010EC0: BF800000
	v_cndmask_b32_e64 v18, v225, v18, s[84:85]                 // 000000010EC4: D1000012 015225E1
	v_add_u32_e32 v169, 0xc3, v168                             // 000000010ECC: 695350FF 000000C3
	v_cmp_lt_u32_e64 s[84:85], v169, v219                      // 000000010ED4: D0C90054 0003B7A9
	s_nop 0                                                    // 000000010EDC: BF800000
	v_cndmask_b32_e64 v19, v225, v19, s[84:85]                 // 000000010EE0: D1000013 015227E1
	v_add_u32_e32 v169, 0, v168                                // 000000010EE8: 69535080
	v_cmp_lt_u32_e64 s[84:85], v169, v220                      // 000000010EEC: D0C90054 0003B9A9
	s_nop 0                                                    // 000000010EF4: BF800000
	v_cndmask_b32_e64 v20, v225, v20, s[84:85]                 // 000000010EF8: D1000014 015229E1
	v_add_u32_e32 v169, 1, v168                                // 000000010F00: 69535081
	v_cmp_lt_u32_e64 s[84:85], v169, v220                      // 000000010F04: D0C90054 0003B9A9
	s_nop 0                                                    // 000000010F0C: BF800000
	v_cndmask_b32_e64 v21, v225, v21, s[84:85]                 // 000000010F10: D1000015 01522BE1
	v_add_u32_e32 v169, 2, v168                                // 000000010F18: 69535082
	v_cmp_lt_u32_e64 s[84:85], v169, v220                      // 000000010F1C: D0C90054 0003B9A9
	s_nop 0                                                    // 000000010F24: BF800000
	v_cndmask_b32_e64 v22, v225, v22, s[84:85]                 // 000000010F28: D1000016 01522DE1
	v_add_u32_e32 v169, 3, v168                                // 000000010F30: 69535083
	v_cmp_lt_u32_e64 s[84:85], v169, v220                      // 000000010F34: D0C90054 0003B9A9
	s_nop 0                                                    // 000000010F3C: BF800000
	v_cndmask_b32_e64 v23, v225, v23, s[84:85]                 // 000000010F40: D1000017 01522FE1
	v_add_u32_e32 v169, 64, v168                               // 000000010F48: 695350C0
	v_cmp_lt_u32_e64 s[84:85], v169, v220                      // 000000010F4C: D0C90054 0003B9A9
	s_nop 0                                                    // 000000010F54: BF800000
	v_cndmask_b32_e64 v24, v225, v24, s[84:85]                 // 000000010F58: D1000018 015231E1
	v_add_u32_e32 v169, 0x41, v168                             // 000000010F60: 695350FF 00000041
	v_cmp_lt_u32_e64 s[84:85], v169, v220                      // 000000010F68: D0C90054 0003B9A9
	s_nop 0                                                    // 000000010F70: BF800000
	v_cndmask_b32_e64 v25, v225, v25, s[84:85]                 // 000000010F74: D1000019 015233E1
	v_add_u32_e32 v169, 0x42, v168                             // 000000010F7C: 695350FF 00000042
	v_cmp_lt_u32_e64 s[84:85], v169, v220                      // 000000010F84: D0C90054 0003B9A9
	s_nop 0                                                    // 000000010F8C: BF800000
	v_cndmask_b32_e64 v26, v225, v26, s[84:85]                 // 000000010F90: D100001A 015235E1
	v_add_u32_e32 v169, 0x43, v168                             // 000000010F98: 695350FF 00000043
	v_cmp_lt_u32_e64 s[84:85], v169, v220                      // 000000010FA0: D0C90054 0003B9A9
	s_nop 0                                                    // 000000010FA8: BF800000
	v_cndmask_b32_e64 v27, v225, v27, s[84:85]                 // 000000010FAC: D100001B 015237E1
	v_add_u32_e32 v169, 0x80, v168                             // 000000010FB4: 695350FF 00000080
	v_cmp_lt_u32_e64 s[84:85], v169, v220                      // 000000010FBC: D0C90054 0003B9A9
	s_nop 0                                                    // 000000010FC4: BF800000
	v_cndmask_b32_e64 v28, v225, v28, s[84:85]                 // 000000010FC8: D100001C 015239E1
	v_add_u32_e32 v169, 0x81, v168                             // 000000010FD0: 695350FF 00000081
	v_cmp_lt_u32_e64 s[84:85], v169, v220                      // 000000010FD8: D0C90054 0003B9A9
	s_nop 0                                                    // 000000010FE0: BF800000
	v_cndmask_b32_e64 v29, v225, v29, s[84:85]                 // 000000010FE4: D100001D 01523BE1
	v_add_u32_e32 v169, 0x82, v168                             // 000000010FEC: 695350FF 00000082
	v_cmp_lt_u32_e64 s[84:85], v169, v220                      // 000000010FF4: D0C90054 0003B9A9
	s_nop 0                                                    // 000000010FFC: BF800000
	v_cndmask_b32_e64 v30, v225, v30, s[84:85]                 // 000000011000: D100001E 01523DE1
	v_add_u32_e32 v169, 0x83, v168                             // 000000011008: 695350FF 00000083
	v_cmp_lt_u32_e64 s[84:85], v169, v220                      // 000000011010: D0C90054 0003B9A9
	s_nop 0                                                    // 000000011018: BF800000
	v_cndmask_b32_e64 v31, v225, v31, s[84:85]                 // 00000001101C: D100001F 01523FE1
	v_add_u32_e32 v169, 0xc0, v168                             // 000000011024: 695350FF 000000C0
	v_cmp_lt_u32_e64 s[84:85], v169, v220                      // 00000001102C: D0C90054 0003B9A9
	s_nop 0                                                    // 000000011034: BF800000
	v_cndmask_b32_e64 v32, v225, v32, s[84:85]                 // 000000011038: D1000020 015241E1
	v_add_u32_e32 v169, 0xc1, v168                             // 000000011040: 695350FF 000000C1
	v_cmp_lt_u32_e64 s[84:85], v169, v220                      // 000000011048: D0C90054 0003B9A9
	s_nop 0                                                    // 000000011050: BF800000
	v_cndmask_b32_e64 v33, v225, v33, s[84:85]                 // 000000011054: D1000021 015243E1
	v_add_u32_e32 v169, 0xc2, v168                             // 00000001105C: 695350FF 000000C2
	v_cmp_lt_u32_e64 s[84:85], v169, v220                      // 000000011064: D0C90054 0003B9A9
	s_nop 0                                                    // 00000001106C: BF800000
	v_cndmask_b32_e64 v34, v225, v34, s[84:85]                 // 000000011070: D1000022 015245E1
	v_add_u32_e32 v169, 0xc3, v168                             // 000000011078: 695350FF 000000C3
	v_cmp_lt_u32_e64 s[84:85], v169, v220                      // 000000011080: D0C90054 0003B9A9
	s_nop 0                                                    // 000000011088: BF800000
	v_cndmask_b32_e64 v35, v225, v35, s[84:85]                 // 00000001108C: D1000023 015247E1
	v_add_u32_e32 v168, s49, v223                              // 000000011094: 6951BE31
	v_add_u32_e32 v169, 0, v168                                // 000000011098: 69535080
	v_cmp_lt_u32_e64 s[84:85], v169, v221                      // 00000001109C: D0C90054 0003BBA9
	s_nop 0                                                    // 0000000110A4: BF800000
	v_cndmask_b32_e64 v36, v225, v36, s[84:85]                 // 0000000110A8: D1000024 015249E1
	v_add_u32_e32 v169, 1, v168                                // 0000000110B0: 69535081
	v_cmp_lt_u32_e64 s[84:85], v169, v221                      // 0000000110B4: D0C90054 0003BBA9
	s_nop 0                                                    // 0000000110BC: BF800000
	v_cndmask_b32_e64 v37, v225, v37, s[84:85]                 // 0000000110C0: D1000025 01524BE1
	v_add_u32_e32 v169, 2, v168                                // 0000000110C8: 69535082
	v_cmp_lt_u32_e64 s[84:85], v169, v221                      // 0000000110CC: D0C90054 0003BBA9
	s_nop 0                                                    // 0000000110D4: BF800000
	v_cndmask_b32_e64 v38, v225, v38, s[84:85]                 // 0000000110D8: D1000026 01524DE1
	v_add_u32_e32 v169, 3, v168                                // 0000000110E0: 69535083
	v_cmp_lt_u32_e64 s[84:85], v169, v221                      // 0000000110E4: D0C90054 0003BBA9
	s_nop 0                                                    // 0000000110EC: BF800000
	v_cndmask_b32_e64 v39, v225, v39, s[84:85]                 // 0000000110F0: D1000027 01524FE1
	v_add_u32_e32 v169, 64, v168                               // 0000000110F8: 695350C0
	v_cmp_lt_u32_e64 s[84:85], v169, v221                      // 0000000110FC: D0C90054 0003BBA9
	s_nop 0                                                    // 000000011104: BF800000
	v_cndmask_b32_e64 v40, v225, v40, s[84:85]                 // 000000011108: D1000028 015251E1
	v_add_u32_e32 v169, 0x41, v168                             // 000000011110: 695350FF 00000041
	v_cmp_lt_u32_e64 s[84:85], v169, v221                      // 000000011118: D0C90054 0003BBA9
	s_nop 0                                                    // 000000011120: BF800000
	v_cndmask_b32_e64 v41, v225, v41, s[84:85]                 // 000000011124: D1000029 015253E1
	v_add_u32_e32 v169, 0x42, v168                             // 00000001112C: 695350FF 00000042
	v_cmp_lt_u32_e64 s[84:85], v169, v221                      // 000000011134: D0C90054 0003BBA9
	s_nop 0                                                    // 00000001113C: BF800000
	v_cndmask_b32_e64 v42, v225, v42, s[84:85]                 // 000000011140: D100002A 015255E1
	v_add_u32_e32 v169, 0x43, v168                             // 000000011148: 695350FF 00000043
	v_cmp_lt_u32_e64 s[84:85], v169, v221                      // 000000011150: D0C90054 0003BBA9
	s_nop 0                                                    // 000000011158: BF800000
	v_cndmask_b32_e64 v43, v225, v43, s[84:85]                 // 00000001115C: D100002B 015257E1
	v_mov_b32_e32 v190, v36                                    // 000000011164: 7F7C0324
	v_max3_f32 v190, v36, v37, v190                            // 000000011168: D1D300BE 06FA4B24
	v_max3_f32 v190, v38, v39, v190                            // 000000011170: D1D300BE 06FA4F26
	v_max3_f32 v190, v40, v41, v190                            // 000000011178: D1D300BE 06FA5328
	v_max3_f32 v190, v42, v43, v190                            // 000000011180: D1D300BE 06FA572A
	v_mov_b32_e32 v189, v20                                    // 000000011188: 7F7A0314
	v_max3_f32 v189, v20, v21, v189                            // 00000001118C: D1D300BD 06F62B14
	v_max3_f32 v189, v22, v23, v189                            // 000000011194: D1D300BD 06F62F16
	v_max3_f32 v189, v24, v25, v189                            // 00000001119C: D1D300BD 06F63318
	v_max3_f32 v189, v26, v27, v189                            // 0000000111A4: D1D300BD 06F6371A
	v_max3_f32 v189, v28, v29, v189                            // 0000000111AC: D1D300BD 06F63B1C
	v_max3_f32 v189, v30, v31, v189                            // 0000000111B4: D1D300BD 06F63F1E
	v_max3_f32 v189, v32, v33, v189                            // 0000000111BC: D1D300BD 06F64320
	v_max3_f32 v189, v34, v35, v189                            // 0000000111C4: D1D300BD 06F64722
	v_mov_b32_e32 v188, v4                                     // 0000000111CC: 7F780304
	v_max3_f32 v188, v4, v5, v188                              // 0000000111D0: D1D300BC 06F20B04
	v_max3_f32 v188, v6, v7, v188                              // 0000000111D8: D1D300BC 06F20F06
	v_max3_f32 v188, v8, v9, v188                              // 0000000111E0: D1D300BC 06F21308
	v_max3_f32 v188, v10, v11, v188                            // 0000000111E8: D1D300BC 06F2170A
	v_max3_f32 v188, v12, v13, v188                            // 0000000111F0: D1D300BC 06F21B0C
	v_max3_f32 v188, v14, v15, v188                            // 0000000111F8: D1D300BC 06F21F0E
	v_max3_f32 v188, v16, v17, v188                            // 000000011200: D1D300BC 06F22310
	v_max3_f32 v188, v18, v19, v188                            // 000000011208: D1D300BC 06F22712
	v_max_f32_dpp v190, v190, v190 row_ror:8 row_mask:0xf bank_mask:0xf// 000000011210: 177D7CFA FF0128BE
	ds_bpermute_b32 v172, v212, v188                           // 000000011218: D87E0000 AC00BCD4
	ds_bpermute_b32 v173, v213, v188                           // 000000011220: D87E0000 AD00BCD5
	ds_bpermute_b32 v174, v214, v188                           // 000000011228: D87E0000 AE00BCD6
	ds_bpermute_b32 v175, v212, v189                           // 000000011230: D87E0000 AF00BDD4
	ds_bpermute_b32 v176, v213, v189                           // 000000011238: D87E0000 B000BDD5
	ds_bpermute_b32 v177, v214, v189                           // 000000011240: D87E0000 B100BDD6
	ds_bpermute_b32 v178, v212, v190                           // 000000011248: D87E0000 B200BED4
	ds_bpermute_b32 v179, v213, v190                           // 000000011250: D87E0000 B300BED5
	ds_bpermute_b32 v180, v214, v190                           // 000000011258: D87E0000 B400BED6
	v_pk_mul_f32 v[124:125], v[200:201], v[124:125]            // 000000011260: D3B1407C 1802F9C8
	v_pk_mul_f32 v[126:127], v[200:201], v[126:127]            // 000000011268: D3B1407E 1802FDC8
	v_pk_mul_f32 v[128:129], v[200:201], v[128:129]            // 000000011270: D3B14080 180301C8
	v_pk_mul_f32 v[130:131], v[200:201], v[130:131]            // 000000011278: D3B14082 180305C8
	v_pk_mul_f32 v[132:133], v[202:203], v[132:133]            // 000000011280: D3B14084 180309CA
	v_pk_mul_f32 v[134:135], v[202:203], v[134:135]            // 000000011288: D3B14086 18030DCA
	v_pk_mul_f32 v[136:137], v[202:203], v[136:137]            // 000000011290: D3B14088 180311CA
	v_pk_mul_f32 v[138:139], v[202:203], v[138:139]            // 000000011298: D3B1408A 180315CA
	v_pk_mul_f32 v[140:141], v[204:205], v[140:141]            // 0000000112A0: D3B1408C 180319CC
	v_pk_mul_f32 v[142:143], v[204:205], v[142:143]            // 0000000112A8: D3B1408E 18031DCC
	v_pk_mul_f32 v[144:145], v[204:205], v[144:145]            // 0000000112B0: D3B14090 180321CC
	v_pk_mul_f32 v[146:147], v[204:205], v[146:147]            // 0000000112B8: D3B14092 180325CC
	s_waitcnt lgkmcnt(6)                                       // 0000000112C0: BF8CC67F
	v_max3_f32 v188, v172, v173, v188                          // 0000000112C4: D1D300BC 06F35BAC
	v_max_f32_e32 v188, v174, v188                             // 0000000112CC: 177979AE
	s_waitcnt lgkmcnt(3)                                       // 0000000112D0: BF8CC37F
	v_max3_f32 v189, v175, v176, v189                          // 0000000112D4: D1D300BD 06F761AF
	v_max_f32_e32 v189, v177, v189                             // 0000000112DC: 177B7BB1
	s_waitcnt lgkmcnt(0)                                       // 0000000112E0: BF8CC07F
	v_max3_f32 v190, v178, v179, v190                          // 0000000112E4: D1D300BE 06FB67B2
	v_max_f32_e32 v190, v180, v190                             // 0000000112EC: 177D7DB4
	ds_write_b128 v246, v[188:191]                             // 0000000112F0: D9BE0000 0000BCF6
	s_waitcnt lgkmcnt(0)                                       // 0000000112F8: BF8CC07F
	s_barrier                                                  // 0000000112FC: BF8A0000
	ds_read_b128 v[172:175], v247                              // 000000011300: D9FE0000 AC0000F7
	ds_read_b128 v[176:179], v247 offset:256                   // 000000011308: D9FE0100 B00000F7
	ds_read_b128 v[180:183], v247 offset:512                   // 000000011310: D9FE0200 B40000F7
	ds_read_b128 v[184:187], v247 offset:768                   // 000000011318: D9FE0300 B80000F7
	v_pk_mul_f32 v[100:101], v[158:159], v[100:101]            // 000000011320: D3B14064 1802C99E
	v_pk_mul_f32 v[102:103], v[158:159], v[102:103]            // 000000011328: D3B14066 1802CD9E
	v_pk_mul_f32 v[104:105], v[158:159], v[104:105]            // 000000011330: D3B14068 1802D19E
	v_pk_mul_f32 v[106:107], v[158:159], v[106:107]            // 000000011338: D3B1406A 1802D59E
	v_pk_mul_f32 v[108:109], v[160:161], v[108:109]            // 000000011340: D3B1406C 1802D9A0
	v_pk_mul_f32 v[110:111], v[160:161], v[110:111]            // 000000011348: D3B1406E 1802DDA0
	v_pk_mul_f32 v[112:113], v[160:161], v[112:113]            // 000000011350: D3B14070 1802E1A0
	v_pk_mul_f32 v[114:115], v[160:161], v[114:115]            // 000000011358: D3B14072 1802E5A0
	v_pk_mul_f32 v[116:117], v[162:163], v[116:117]            // 000000011360: D3B14074 1802E9A2
	v_pk_mul_f32 v[118:119], v[162:163], v[118:119]            // 000000011368: D3B14076 1802EDA2
	v_pk_mul_f32 v[120:121], v[162:163], v[120:121]            // 000000011370: D3B14078 1802F1A2
	v_pk_mul_f32 v[122:123], v[162:163], v[122:123]            // 000000011378: D3B1407A 1802F5A2
	s_waitcnt lgkmcnt(0)                                       // 000000011380: BF8CC07F
	v_max3_f32 v188, v172, v176, v188                          // 000000011384: D1D300BC 06F361AC
	v_max3_f32 v189, v173, v177, v189                          // 00000001138C: D1D300BD 06F763AD
	v_max3_f32 v190, v174, v178, v190                          // 000000011394: D1D300BE 06FB65AE
	v_max3_f32 v188, v180, v184, v188                          // 00000001139C: D1D300BC 06F371B4
	v_max3_f32 v189, v181, v185, v189                          // 0000000113A4: D1D300BD 06F773B5
	v_max3_f32 v190, v182, v186, v190                          // 0000000113AC: D1D300BE 06FB75B6
	v_max_f32_e32 v197, v188, v194                             // 0000000113B4: 178B85BC
	v_mul_f32_e64 v168, -s51, v197                             // 0000000113B8: D10500A8 20038A33
	v_mov_b32_e32 v169, v168                                   // 0000000113C0: 7F5203A8
	v_pk_fma_f32 v[4:5], v[4:5], s[86:87], v[168:169]          // 0000000113C4: D3B04004 1EA0AD04
	v_pk_fma_f32 v[6:7], v[6:7], s[86:87], v[168:169]          // 0000000113CC: D3B04006 1EA0AD06
	v_exp_f32_e32 v4, v4                                       // 0000000113D4: 7E084104
	v_exp_f32_e32 v5, v5                                       // 0000000113D8: 7E0A4105
	v_exp_f32_e32 v6, v6                                       // 0000000113DC: 7E0C4106
	v_exp_f32_e32 v7, v7                                       // 0000000113E0: 7E0E4107
	v_pk_fma_f32 v[8:9], v[8:9], s[86:87], v[168:169]          // 0000000113E4: D3B04008 1EA0AD08
	v_pk_fma_f32 v[10:11], v[10:11], s[86:87], v[168:169]      // 0000000113EC: D3B0400A 1EA0AD0A
	v_exp_f32_e32 v8, v8                                       // 0000000113F4: 7E104108
	v_exp_f32_e32 v9, v9                                       // 0000000113F8: 7E124109
	v_exp_f32_e32 v10, v10                                     // 0000000113FC: 7E14410A
	v_exp_f32_e32 v11, v11                                     // 000000011400: 7E16410B
	v_pk_fma_f32 v[12:13], v[12:13], s[86:87], v[168:169]      // 000000011404: D3B0400C 1EA0AD0C
	v_pk_fma_f32 v[14:15], v[14:15], s[86:87], v[168:169]      // 00000001140C: D3B0400E 1EA0AD0E
	v_exp_f32_e32 v12, v12                                     // 000000011414: 7E18410C
	v_exp_f32_e32 v13, v13                                     // 000000011418: 7E1A410D
	v_exp_f32_e32 v14, v14                                     // 00000001141C: 7E1C410E
	v_exp_f32_e32 v15, v15                                     // 000000011420: 7E1E410F
	v_pk_fma_f32 v[16:17], v[16:17], s[86:87], v[168:169]      // 000000011424: D3B04010 1EA0AD10
	v_pk_fma_f32 v[18:19], v[18:19], s[86:87], v[168:169]      // 00000001142C: D3B04012 1EA0AD12
	v_exp_f32_e32 v16, v16                                     // 000000011434: 7E204110
	v_exp_f32_e32 v17, v17                                     // 000000011438: 7E224111
	v_exp_f32_e32 v18, v18                                     // 00000001143C: 7E244112
	v_exp_f32_e32 v19, v19                                     // 000000011440: 7E264113
	v_max_f32_e32 v198, v189, v195                             // 000000011444: 178D87BD
	v_mul_f32_e64 v168, -s51, v198                             // 000000011448: D10500A8 20038C33
	v_mov_b32_e32 v169, v168                                   // 000000011450: 7F5203A8
	v_pk_fma_f32 v[20:21], v[20:21], s[86:87], v[168:169]      // 000000011454: D3B04014 1EA0AD14
	v_pk_fma_f32 v[22:23], v[22:23], s[86:87], v[168:169]      // 00000001145C: D3B04016 1EA0AD16
	v_exp_f32_e32 v20, v20                                     // 000000011464: 7E284114
	v_exp_f32_e32 v21, v21                                     // 000000011468: 7E2A4115
	v_exp_f32_e32 v22, v22                                     // 00000001146C: 7E2C4116
	v_exp_f32_e32 v23, v23                                     // 000000011470: 7E2E4117
	v_pk_fma_f32 v[24:25], v[24:25], s[86:87], v[168:169]      // 000000011474: D3B04018 1EA0AD18
	v_pk_fma_f32 v[26:27], v[26:27], s[86:87], v[168:169]      // 00000001147C: D3B0401A 1EA0AD1A
	v_exp_f32_e32 v24, v24                                     // 000000011484: 7E304118
	v_exp_f32_e32 v25, v25                                     // 000000011488: 7E324119
	v_exp_f32_e32 v26, v26                                     // 00000001148C: 7E34411A
	v_exp_f32_e32 v27, v27                                     // 000000011490: 7E36411B
	v_pk_fma_f32 v[28:29], v[28:29], s[86:87], v[168:169]      // 000000011494: D3B0401C 1EA0AD1C
	v_pk_fma_f32 v[30:31], v[30:31], s[86:87], v[168:169]      // 00000001149C: D3B0401E 1EA0AD1E
	v_exp_f32_e32 v28, v28                                     // 0000000114A4: 7E38411C
	v_exp_f32_e32 v29, v29                                     // 0000000114A8: 7E3A411D
	v_exp_f32_e32 v30, v30                                     // 0000000114AC: 7E3C411E
	v_exp_f32_e32 v31, v31                                     // 0000000114B0: 7E3E411F
	v_pk_fma_f32 v[32:33], v[32:33], s[86:87], v[168:169]      // 0000000114B4: D3B04020 1EA0AD20
	v_pk_fma_f32 v[34:35], v[34:35], s[86:87], v[168:169]      // 0000000114BC: D3B04022 1EA0AD22
	v_exp_f32_e32 v32, v32                                     // 0000000114C4: 7E404120
	v_exp_f32_e32 v33, v33                                     // 0000000114C8: 7E424121
	v_exp_f32_e32 v34, v34                                     // 0000000114CC: 7E444122
	v_exp_f32_e32 v35, v35                                     // 0000000114D0: 7E464123
	v_max_f32_e32 v199, v190, v196                             // 0000000114D4: 178F89BE
	v_mul_f32_e64 v168, -s51, v199                             // 0000000114D8: D10500A8 20038E33
	v_mov_b32_e32 v169, v168                                   // 0000000114E0: 7F5203A8
	v_pk_fma_f32 v[36:37], v[36:37], s[86:87], v[168:169]      // 0000000114E4: D3B04024 1EA0AD24
	v_pk_fma_f32 v[38:39], v[38:39], s[86:87], v[168:169]      // 0000000114EC: D3B04026 1EA0AD26
	v_exp_f32_e32 v36, v36                                     // 0000000114F4: 7E484124
	v_exp_f32_e32 v37, v37                                     // 0000000114F8: 7E4A4125
	v_exp_f32_e32 v38, v38                                     // 0000000114FC: 7E4C4126
	v_exp_f32_e32 v39, v39                                     // 000000011500: 7E4E4127
	v_pk_fma_f32 v[40:41], v[40:41], s[86:87], v[168:169]      // 000000011504: D3B04028 1EA0AD28
	v_pk_fma_f32 v[42:43], v[42:43], s[86:87], v[168:169]      // 00000001150C: D3B0402A 1EA0AD2A
	v_exp_f32_e32 v40, v40                                     // 000000011514: 7E504128
	v_exp_f32_e32 v41, v41                                     // 000000011518: 7E524129
	v_exp_f32_e32 v42, v42                                     // 00000001151C: 7E54412A
	v_exp_f32_e32 v43, v43                                     // 000000011520: 7E56412B
	v_mul_f32_dpp v52, v156, v4 row_newbcast:0 row_mask:0xf bank_mask:0xf// 000000011524: 0A6808FA FF01509C
	v_mul_f32_dpp v53, v156, v5 row_newbcast:1 row_mask:0xf bank_mask:0xf// 00000001152C: 0A6A0AFA FF01519C
	v_mul_f32_dpp v54, v156, v6 row_newbcast:2 row_mask:0xf bank_mask:0xf// 000000011534: 0A6C0CFA FF01529C
	v_mul_f32_dpp v55, v156, v7 row_newbcast:3 row_mask:0xf bank_mask:0xf// 00000001153C: 0A6E0EFA FF01539C
	v_mul_f32_dpp v56, v156, v8 row_newbcast:4 row_mask:0xf bank_mask:0xf// 000000011544: 0A7010FA FF01549C
	v_mul_f32_dpp v57, v156, v9 row_newbcast:5 row_mask:0xf bank_mask:0xf// 00000001154C: 0A7212FA FF01559C
	v_mul_f32_dpp v58, v156, v10 row_newbcast:6 row_mask:0xf bank_mask:0xf// 000000011554: 0A7414FA FF01569C
	v_mul_f32_dpp v59, v156, v11 row_newbcast:7 row_mask:0xf bank_mask:0xf// 00000001155C: 0A7616FA FF01579C
	v_mul_f32_dpp v60, v156, v12 row_newbcast:8 row_mask:0xf bank_mask:0xf// 000000011564: 0A7818FA FF01589C
	v_mul_f32_dpp v61, v156, v13 row_newbcast:9 row_mask:0xf bank_mask:0xf// 00000001156C: 0A7A1AFA FF01599C
	v_mul_f32_dpp v62, v156, v14 row_newbcast:10 row_mask:0xf bank_mask:0xf// 000000011574: 0A7C1CFA FF015A9C
	v_mul_f32_dpp v63, v156, v15 row_newbcast:11 row_mask:0xf bank_mask:0xf// 00000001157C: 0A7E1EFA FF015B9C
	v_mul_f32_dpp v64, v156, v16 row_newbcast:12 row_mask:0xf bank_mask:0xf// 000000011584: 0A8020FA FF015C9C
	v_mul_f32_dpp v65, v156, v17 row_newbcast:13 row_mask:0xf bank_mask:0xf// 00000001158C: 0A8222FA FF015D9C
	v_mul_f32_dpp v66, v156, v18 row_newbcast:14 row_mask:0xf bank_mask:0xf// 000000011594: 0A8424FA FF015E9C
	v_mul_f32_dpp v67, v156, v19 row_newbcast:15 row_mask:0xf bank_mask:0xf// 00000001159C: 0A8626FA FF015F9C
	v_mul_f32_dpp v68, v156, v20 row_newbcast:0 row_mask:0xf bank_mask:0xf// 0000000115A4: 0A8828FA FF01509C
	v_mul_f32_dpp v69, v156, v21 row_newbcast:1 row_mask:0xf bank_mask:0xf// 0000000115AC: 0A8A2AFA FF01519C
	v_mul_f32_dpp v70, v156, v22 row_newbcast:2 row_mask:0xf bank_mask:0xf// 0000000115B4: 0A8C2CFA FF01529C
	v_mul_f32_dpp v71, v156, v23 row_newbcast:3 row_mask:0xf bank_mask:0xf// 0000000115BC: 0A8E2EFA FF01539C
	v_mul_f32_dpp v72, v156, v24 row_newbcast:4 row_mask:0xf bank_mask:0xf// 0000000115C4: 0A9030FA FF01549C
	v_mul_f32_dpp v73, v156, v25 row_newbcast:5 row_mask:0xf bank_mask:0xf// 0000000115CC: 0A9232FA FF01559C
	v_mul_f32_dpp v74, v156, v26 row_newbcast:6 row_mask:0xf bank_mask:0xf// 0000000115D4: 0A9434FA FF01569C
	v_mul_f32_dpp v75, v156, v27 row_newbcast:7 row_mask:0xf bank_mask:0xf// 0000000115DC: 0A9636FA FF01579C
	v_mul_f32_dpp v76, v156, v28 row_newbcast:8 row_mask:0xf bank_mask:0xf// 0000000115E4: 0A9838FA FF01589C
	v_mul_f32_dpp v77, v156, v29 row_newbcast:9 row_mask:0xf bank_mask:0xf// 0000000115EC: 0A9A3AFA FF01599C
	v_mul_f32_dpp v78, v156, v30 row_newbcast:10 row_mask:0xf bank_mask:0xf// 0000000115F4: 0A9C3CFA FF015A9C
	v_mul_f32_dpp v79, v156, v31 row_newbcast:11 row_mask:0xf bank_mask:0xf// 0000000115FC: 0A9E3EFA FF015B9C
	v_mul_f32_dpp v80, v156, v32 row_newbcast:12 row_mask:0xf bank_mask:0xf// 000000011604: 0AA040FA FF015C9C
	v_mul_f32_dpp v81, v156, v33 row_newbcast:13 row_mask:0xf bank_mask:0xf// 00000001160C: 0AA242FA FF015D9C
	v_mul_f32_dpp v82, v156, v34 row_newbcast:14 row_mask:0xf bank_mask:0xf// 000000011614: 0AA444FA FF015E9C
	v_mul_f32_dpp v83, v156, v35 row_newbcast:15 row_mask:0xf bank_mask:0xf// 00000001161C: 0AA646FA FF015F9C
	v_mul_f32_dpp v84, v166, v36 quad_perm:[0,0,0,0] row_mask:0xf bank_mask:0xf// 000000011624: 0AA848FA FF0000A6
	v_mul_f32_dpp v85, v166, v37 quad_perm:[1,1,1,1] row_mask:0xf bank_mask:0xf// 00000001162C: 0AAA4AFA FF0055A6
	v_mul_f32_dpp v86, v166, v38 quad_perm:[2,2,2,2] row_mask:0xf bank_mask:0xf// 000000011634: 0AAC4CFA FF00AAA6
	v_mul_f32_dpp v87, v166, v39 quad_perm:[3,3,3,3] row_mask:0xf bank_mask:0xf// 00000001163C: 0AAE4EFA FF00FFA6
	v_mul_f32_dpp v88, v167, v40 quad_perm:[0,0,0,0] row_mask:0xf bank_mask:0xf// 000000011644: 0AB050FA FF0000A7
	v_mul_f32_dpp v89, v167, v41 quad_perm:[1,1,1,1] row_mask:0xf bank_mask:0xf// 00000001164C: 0AB252FA FF0055A7
	v_mul_f32_dpp v90, v167, v42 quad_perm:[2,2,2,2] row_mask:0xf bank_mask:0xf// 000000011654: 0AB454FA FF00AAA7
	v_mul_f32_dpp v91, v167, v43 quad_perm:[3,3,3,3] row_mask:0xf bank_mask:0xf// 00000001165C: 0AB656FA FF00FFA7
	v_mov_b32_e32 v190, 0x358637bd                             // 000000011664: 7F7C02FF 358637BD
	v_max3_f32 v190, |v84|, |v85|, v190                        // 00000001166C: D1D303BE 06FAAB54
	v_max3_f32 v190, |v86|, |v87|, v190                        // 000000011674: D1D303BE 06FAAF56
	v_max3_f32 v190, |v88|, |v89|, v190                        // 00000001167C: D1D303BE 06FAB358
	v_max3_f32 v190, |v90|, |v91|, v190                        // 000000011684: D1D303BE 06FAB75A
	v_mov_b32_e32 v189, 0x358637bd                             // 00000001168C: 7F7A02FF 358637BD
	v_max3_f32 v189, |v68|, |v69|, v189                        // 000000011694: D1D303BD 06F68B44
	v_max3_f32 v189, |v70|, |v71|, v189                        // 00000001169C: D1D303BD 06F68F46
	v_max3_f32 v189, |v72|, |v73|, v189                        // 0000000116A4: D1D303BD 06F69348
	v_max3_f32 v189, |v74|, |v75|, v189                        // 0000000116AC: D1D303BD 06F6974A
	v_max3_f32 v189, |v76|, |v77|, v189                        // 0000000116B4: D1D303BD 06F69B4C
	v_max3_f32 v189, |v78|, |v79|, v189                        // 0000000116BC: D1D303BD 06F69F4E
	v_max3_f32 v189, |v80|, |v81|, v189                        // 0000000116C4: D1D303BD 06F6A350
	v_max3_f32 v189, |v82|, |v83|, v189                        // 0000000116CC: D1D303BD 06F6A752
	v_mov_b32_e32 v188, 0x358637bd                             // 0000000116D4: 7F7802FF 358637BD
	v_max3_f32 v188, |v52|, |v53|, v188                        // 0000000116DC: D1D303BC 06F26B34
	v_max3_f32 v188, |v54|, |v55|, v188                        // 0000000116E4: D1D303BC 06F26F36
	v_max3_f32 v188, |v56|, |v57|, v188                        // 0000000116EC: D1D303BC 06F27338
	v_max3_f32 v188, |v58|, |v59|, v188                        // 0000000116F4: D1D303BC 06F2773A
	v_max3_f32 v188, |v60|, |v61|, v188                        // 0000000116FC: D1D303BC 06F27B3C
	v_max3_f32 v188, |v62|, |v63|, v188                        // 000000011704: D1D303BC 06F27F3E
	v_max3_f32 v188, |v64|, |v65|, v188                        // 00000001170C: D1D303BC 06F28340
	v_max3_f32 v188, |v66|, |v67|, v188                        // 000000011714: D1D303BC 06F28742
	v_max_f32_dpp v190, v190, v190 row_ror:8 row_mask:0xf bank_mask:0xf// 00000001171C: 177D7CFA FF0128BE
	ds_bpermute_b32 v172, v212, v188                           // 000000011724: D87E0000 AC00BCD4
	ds_bpermute_b32 v173, v213, v188                           // 00000001172C: D87E0000 AD00BCD5
	ds_bpermute_b32 v174, v214, v188                           // 000000011734: D87E0000 AE00BCD6
	ds_bpermute_b32 v175, v212, v189                           // 00000001173C: D87E0000 AF00BDD4
	ds_bpermute_b32 v176, v213, v189                           // 000000011744: D87E0000 B000BDD5
	ds_bpermute_b32 v177, v214, v189                           // 00000001174C: D87E0000 B100BDD6
	ds_bpermute_b32 v178, v212, v190                           // 000000011754: D87E0000 B200BED4
	ds_bpermute_b32 v179, v213, v190                           // 00000001175C: D87E0000 B300BED5
	ds_bpermute_b32 v180, v214, v190                           // 000000011764: D87E0000 B400BED6
	s_waitcnt lgkmcnt(6)                                       // 00000001176C: BF8CC67F
	v_max3_f32 v188, v172, v173, v188                          // 000000011770: D1D300BC 06F35BAC
	v_max_f32_e32 v188, v174, v188                             // 000000011778: 177979AE
	s_waitcnt lgkmcnt(3)                                       // 00000001177C: BF8CC37F
	v_max3_f32 v189, v175, v176, v189                          // 000000011780: D1D300BD 06F761AF
	v_max_f32_e32 v189, v177, v189                             // 000000011788: 177B7BB1
	s_waitcnt lgkmcnt(0)                                       // 00000001178C: BF8CC07F
	v_max3_f32 v190, v178, v179, v190                          // 000000011790: D1D300BE 06FB67B2
	v_max_f32_e32 v190, v180, v190                             // 000000011798: 177D7DB4
	ds_write_b128 v246, v[188:191] offset:4096                 // 00000001179C: D9BE1000 0000BCF6
	v_sub_f32_e32 v200, v194, v197                             // 0000000117A4: 05918BC2
	v_cmp_eq_u32_e64 s[84:85], v225, v194                      // 0000000117A8: D0CA0054 000385E1
	v_cndmask_b32_e64 v200, v200, 0, s[84:85]                  // 0000000117B0: D10000C8 015101C8
	v_mov_b32_e32 v194, v197                                   // 0000000117B8: 7F8403C5
	v_mul_f32_e32 v200, s51, v200                              // 0000000117BC: 0B919033
	v_exp_f32_e32 v200, v200                                   // 0000000117C0: 7F9041C8
	v_sub_f32_e32 v202, v195, v198                             // 0000000117C4: 05958DC3
	v_cmp_eq_u32_e64 s[84:85], v225, v195                      // 0000000117C8: D0CA0054 000387E1
	v_cndmask_b32_e64 v202, v202, 0, s[84:85]                  // 0000000117D0: D10000CA 015101CA
	v_mov_b32_e32 v195, v198                                   // 0000000117D8: 7F8603C6
	v_mul_f32_e32 v202, s51, v202                              // 0000000117DC: 0B959433
	v_exp_f32_e32 v202, v202                                   // 0000000117E0: 7F9441CA
	v_sub_f32_e32 v204, v196, v199                             // 0000000117E4: 05998FC4
	v_cmp_eq_u32_e64 s[84:85], v225, v196                      // 0000000117E8: D0CA0054 000389E1
	v_cndmask_b32_e64 v204, v204, 0, s[84:85]                  // 0000000117F0: D10000CC 015101CC
	v_mov_b32_e32 v196, v199                                   // 0000000117F8: 7F8803C7
	v_mul_f32_e32 v204, s51, v204                              // 0000000117FC: 0B999833
	v_exp_f32_e32 v204, v204                                   // 000000011800: 7F9841CC
	v_mov_b32_e32 v201, v200                                   // 000000011804: 7F9203C8
	v_mov_b32_e32 v203, v202                                   // 000000011808: 7F9603CA
	v_mov_b32_e32 v205, v204                                   // 00000001180C: 7F9A03CC
	s_waitcnt lgkmcnt(0)                                       // 000000011810: BF8CC07F
	s_barrier                                                  // 000000011814: BF8A0000
	ds_read_b128 v[172:175], v247 offset:4096                  // 000000011818: D9FE1000 AC0000F7
	ds_read_b128 v[176:179], v247 offset:4352                  // 000000011820: D9FE1100 B00000F7
	ds_read_b128 v[180:183], v247 offset:4608                  // 000000011828: D9FE1200 B40000F7
	ds_read_b128 v[184:187], v247 offset:4864                  // 000000011830: D9FE1300 B80000F7
	v_mul_f32_e32 v206, v200, v206                             // 000000011838: 0B9D9DC8
	v_mov_b32_e32 v207, 0                                      // 00000001183C: 7F9E0280
	v_pk_add_f32 v[206:207], v[4:5], v[206:207]                // 000000011840: D3B240CE 18039D04
	v_pk_add_f32 v[206:207], v[6:7], v[206:207]                // 000000011848: D3B240CE 18039D06
	v_pk_add_f32 v[206:207], v[8:9], v[206:207]                // 000000011850: D3B240CE 18039D08
	v_pk_add_f32 v[206:207], v[10:11], v[206:207]              // 000000011858: D3B240CE 18039D0A
	v_pk_add_f32 v[206:207], v[12:13], v[206:207]              // 000000011860: D3B240CE 18039D0C
	v_pk_add_f32 v[206:207], v[14:15], v[206:207]              // 000000011868: D3B240CE 18039D0E
	v_pk_add_f32 v[206:207], v[16:17], v[206:207]              // 000000011870: D3B240CE 18039D10
	v_pk_add_f32 v[206:207], v[18:19], v[206:207]              // 000000011878: D3B240CE 18039D12
	v_add_f32_e32 v206, v207, v206                             // 000000011880: 039D9DCF
	v_mul_f32_e32 v208, v202, v208                             // 000000011884: 0BA1A1CA
	v_mov_b32_e32 v209, 0                                      // 000000011888: 7FA20280
	v_pk_add_f32 v[208:209], v[20:21], v[208:209]              // 00000001188C: D3B240D0 1803A114
	v_pk_add_f32 v[208:209], v[22:23], v[208:209]              // 000000011894: D3B240D0 1803A116
	v_pk_add_f32 v[208:209], v[24:25], v[208:209]              // 00000001189C: D3B240D0 1803A118
	v_pk_add_f32 v[208:209], v[26:27], v[208:209]              // 0000000118A4: D3B240D0 1803A11A
	v_pk_add_f32 v[208:209], v[28:29], v[208:209]              // 0000000118AC: D3B240D0 1803A11C
	v_pk_add_f32 v[208:209], v[30:31], v[208:209]              // 0000000118B4: D3B240D0 1803A11E
	v_pk_add_f32 v[208:209], v[32:33], v[208:209]              // 0000000118BC: D3B240D0 1803A120
	v_pk_add_f32 v[208:209], v[34:35], v[208:209]              // 0000000118C4: D3B240D0 1803A122
	v_add_f32_e32 v208, v209, v208                             // 0000000118CC: 03A1A1D1
	v_mul_f32_e32 v210, v204, v210                             // 0000000118D0: 0BA5A5CC
	v_mov_b32_e32 v211, 0                                      // 0000000118D4: 7FA60280
	v_pk_add_f32 v[210:211], v[36:37], v[210:211]              // 0000000118D8: D3B240D2 1803A524
	v_pk_add_f32 v[210:211], v[38:39], v[210:211]              // 0000000118E0: D3B240D2 1803A526
	v_pk_add_f32 v[210:211], v[40:41], v[210:211]              // 0000000118E8: D3B240D2 1803A528
	v_pk_add_f32 v[210:211], v[42:43], v[210:211]              // 0000000118F0: D3B240D2 1803A52A
	v_add_f32_e32 v210, v211, v210                             // 0000000118F8: 03A5A5D3
	s_waitcnt lgkmcnt(0)                                       // 0000000118FC: BF8CC07F
	v_max3_f32 v188, v172, v176, v188                          // 000000011900: D1D300BC 06F361AC
	v_max3_f32 v189, v173, v177, v189                          // 000000011908: D1D300BD 06F763AD
	v_max3_f32 v190, v174, v178, v190                          // 000000011910: D1D300BE 06FB65AE
	v_max3_f32 v188, v180, v184, v188                          // 000000011918: D1D300BC 06F371B4
	v_max3_f32 v189, v181, v185, v189                          // 000000011920: D1D300BD 06F773B5
	v_max3_f32 v190, v182, v186, v190                          // 000000011928: D1D300BE 06FB75B6
	v_rcp_f32_e32 v188, v188                                   // 000000011930: 7F7845BC
	v_rcp_f32_e32 v189, v189                                   // 000000011934: 7F7A45BD
	v_rcp_f32_e32 v190, v190                                   // 000000011938: 7F7C45BE
	v_mul_f32_e32 v188, 0x43700000, v188                       // 00000001193C: 0B7978FF 43700000
	v_mul_f32_e32 v189, 0x43700000, v189                       // 000000011944: 0B7B7AFF 43700000
	v_mul_f32_e32 v190, 0x43700000, v190                       // 00000001194C: 0B7D7CFF 43700000
	v_mov_b32_e32 v192, v190                                   // 000000011954: 7F8003BE
	v_mov_b32_e32 v193, v190                                   // 000000011958: 7F8203BE
	v_mov_b32_e32 v190, v189                                   // 00000001195C: 7F7C03BD
	v_mov_b32_e32 v191, v189                                   // 000000011960: 7F7E03BD
	v_mov_b32_e32 v189, v188                                   // 000000011964: 7F7A03BC
	v_pk_mul_f32 v[4:5], v[188:189], v[52:53]                  // 000000011968: D3B14004 180269BC
	v_pk_mul_f32 v[6:7], v[188:189], v[54:55]                  // 000000011970: D3B14006 18026DBC
	v_pk_mul_f32 v[8:9], v[188:189], v[56:57]                  // 000000011978: D3B14008 180271BC
	v_pk_mul_f32 v[10:11], v[188:189], v[58:59]                // 000000011980: D3B1400A 180275BC
	v_pk_mul_f32 v[12:13], v[188:189], v[60:61]                // 000000011988: D3B1400C 180279BC
	v_pk_mul_f32 v[14:15], v[188:189], v[62:63]                // 000000011990: D3B1400E 18027DBC
	v_pk_mul_f32 v[16:17], v[188:189], v[64:65]                // 000000011998: D3B14010 180281BC
	v_pk_mul_f32 v[18:19], v[188:189], v[66:67]                // 0000000119A0: D3B14012 180285BC
	v_pk_mul_f32 v[20:21], v[190:191], v[68:69]                // 0000000119A8: D3B14014 180289BE
	v_pk_mul_f32 v[22:23], v[190:191], v[70:71]                // 0000000119B0: D3B14016 18028DBE
	v_pk_mul_f32 v[24:25], v[190:191], v[72:73]                // 0000000119B8: D3B14018 180291BE
	v_pk_mul_f32 v[26:27], v[190:191], v[74:75]                // 0000000119C0: D3B1401A 180295BE
	v_pk_mul_f32 v[28:29], v[190:191], v[76:77]                // 0000000119C8: D3B1401C 180299BE
	v_pk_mul_f32 v[30:31], v[190:191], v[78:79]                // 0000000119D0: D3B1401E 18029DBE
	v_pk_mul_f32 v[32:33], v[190:191], v[80:81]                // 0000000119D8: D3B14020 1802A1BE
	v_pk_mul_f32 v[34:35], v[190:191], v[82:83]                // 0000000119E0: D3B14022 1802A5BE
	v_pk_mul_f32 v[36:37], v[192:193], v[84:85]                // 0000000119E8: D3B14024 1802A9C0
	v_pk_mul_f32 v[38:39], v[192:193], v[86:87]                // 0000000119F0: D3B14026 1802ADC0
	v_pk_mul_f32 v[40:41], v[192:193], v[88:89]                // 0000000119F8: D3B14028 1802B1C0
	v_pk_mul_f32 v[42:43], v[192:193], v[90:91]                // 000000011A00: D3B1402A 1802B5C0
	v_cvt_pk_fp8_f32 v4, v4, v5                                // 000000011A08: D2A20004 00020B04
	v_cvt_pk_fp8_f32 v4, v6, v7 op_sel:[0,0,1]                 // 000000011A10: D2A24004 00020F06
	v_cvt_pk_fp8_f32 v5, v8, v9                                // 000000011A18: D2A20005 00021308
	v_cvt_pk_fp8_f32 v5, v10, v11 op_sel:[0,0,1]               // 000000011A20: D2A24005 0002170A
	v_cvt_pk_fp8_f32 v6, v12, v13                              // 000000011A28: D2A20006 00021B0C
	v_cvt_pk_fp8_f32 v6, v14, v15 op_sel:[0,0,1]               // 000000011A30: D2A24006 00021F0E
	v_cvt_pk_fp8_f32 v7, v16, v17                              // 000000011A38: D2A20007 00022310
	v_cvt_pk_fp8_f32 v7, v18, v19 op_sel:[0,0,1]               // 000000011A40: D2A24007 00022712
	v_cvt_pk_fp8_f32 v8, v20, v21                              // 000000011A48: D2A20008 00022B14
	v_cvt_pk_fp8_f32 v8, v22, v23 op_sel:[0,0,1]               // 000000011A50: D2A24008 00022F16
	v_cvt_pk_fp8_f32 v9, v24, v25                              // 000000011A58: D2A20009 00023318
	v_cvt_pk_fp8_f32 v9, v26, v27 op_sel:[0,0,1]               // 000000011A60: D2A24009 0002371A
	v_cvt_pk_fp8_f32 v10, v28, v29                             // 000000011A68: D2A2000A 00023B1C
	v_cvt_pk_fp8_f32 v10, v30, v31 op_sel:[0,0,1]              // 000000011A70: D2A2400A 00023F1E
	v_cvt_pk_fp8_f32 v11, v32, v33                             // 000000011A78: D2A2000B 00024320
	v_cvt_pk_fp8_f32 v11, v34, v35 op_sel:[0,0,1]              // 000000011A80: D2A2400B 00024722
	v_cvt_pk_fp8_f32 v12, v36, v37                             // 000000011A88: D2A2000C 00024B24
	v_cvt_pk_fp8_f32 v12, v38, v39 op_sel:[0,0,1]              // 000000011A90: D2A2400C 00024F26
	v_cvt_pk_fp8_f32 v13, v40, v41                             // 000000011A98: D2A2000D 00025328
	v_cvt_pk_fp8_f32 v13, v42, v43 op_sel:[0,0,1]              // 000000011AA0: D2A2400D 0002572A
	v_mov_b32_dpp v14, v12 row_shl:8 row_mask:0xf bank_mask:0xf bound_ctrl:1// 000000011AA8: 7E1C02FA FF09080C
	v_and_b32_e32 v12, v12, v224                               // 000000011AB0: 2619C10C
	v_mov_b32_dpp v15, v13 row_shl:8 row_mask:0xf bank_mask:0xf bound_ctrl:1// 000000011AB4: 7E1E02FA FF09080D
	v_and_b32_e32 v13, v13, v224                               // 000000011ABC: 261BC10D
	ds_write_b32 v248, v4 offset:8192                          // 000000011AC0: D81A2000 000004F8
	ds_write_b32 v248, v5 offset:9216                          // 000000011AC8: D81A2400 000005F8
	ds_write_b32 v248, v6 offset:10240                         // 000000011AD0: D81A2800 000006F8
	ds_write_b32 v248, v7 offset:11264                         // 000000011AD8: D81A2C00 000007F8
	ds_write_b32 v248, v8 offset:12288                         // 000000011AE0: D81A3000 000008F8
	ds_write_b32 v248, v9 offset:13312                         // 000000011AE8: D81A3400 000009F8
	ds_write_b32 v248, v10 offset:14336                        // 000000011AF0: D81A3800 00000AF8
	ds_write_b32 v248, v11 offset:15360                        // 000000011AF8: D81A3C00 00000BF8
	ds_write_b32 v248, v12 offset:16384                        // 000000011B00: D81A4000 00000CF8
	ds_write_b32 v248, v13 offset:17408                        // 000000011B08: D81A4400 00000DF8
	ds_write_b32 v248, v14 offset:18432                        // 000000011B10: D81A4800 00000EF8
	ds_write_b32 v248, v15 offset:19456                        // 000000011B18: D81A4C00 00000FF8
	v_rcp_f32_e32 v158, v188                                   // 000000011B20: 7F3C45BC
	v_rcp_f32_e32 v160, v190                                   // 000000011B24: 7F4045BE
	v_rcp_f32_e32 v162, v192                                   // 000000011B28: 7F4445C0
	v_mov_b32_e32 v159, v158                                   // 000000011B2C: 7F3E039E
	v_mov_b32_e32 v161, v160                                   // 000000011B30: 7F4203A0
	v_mov_b32_e32 v163, v162                                   // 000000011B34: 7F4603A2
	v_pk_add_f32 v[124:125], v[124:125], v[100:101]            // 000000011B38: D3B2407C 1802C97C
	v_pk_add_f32 v[126:127], v[126:127], v[102:103]            // 000000011B40: D3B2407E 1802CD7E
	v_pk_add_f32 v[128:129], v[128:129], v[104:105]            // 000000011B48: D3B24080 1802D180
	v_pk_add_f32 v[130:131], v[130:131], v[106:107]            // 000000011B50: D3B24082 1802D582
	v_pk_add_f32 v[132:133], v[132:133], v[108:109]            // 000000011B58: D3B24084 1802D984
	v_pk_add_f32 v[134:135], v[134:135], v[110:111]            // 000000011B60: D3B24086 1802DD86
	v_pk_add_f32 v[136:137], v[136:137], v[112:113]            // 000000011B68: D3B24088 1802E188
	v_pk_add_f32 v[138:139], v[138:139], v[114:115]            // 000000011B70: D3B2408A 1802E58A
	v_pk_add_f32 v[140:141], v[140:141], v[116:117]            // 000000011B78: D3B2408C 1802E98C
	v_pk_add_f32 v[142:143], v[142:143], v[118:119]            // 000000011B80: D3B2408E 1802ED8E
	v_pk_add_f32 v[144:145], v[144:145], v[120:121]            // 000000011B88: D3B24090 1802F190
	v_pk_add_f32 v[146:147], v[146:147], v[122:123]            // 000000011B90: D3B24092 1802F592
	s_waitcnt lgkmcnt(0)                                       // 000000011B98: BF8CC07F
	s_barrier                                                  // 000000011B9C: BF8A0000
	ds_read_b128 v[4:7], v249 offset:8192                      // 000000011BA0: D9FE2000 040000F9
	ds_read_b128 v[8:11], v249 offset:9216                     // 000000011BA8: D9FE2400 080000F9
	ds_read_b128 v[12:15], v249 offset:10240                   // 000000011BB0: D9FE2800 0C0000F9
	ds_read_b128 v[16:19], v249 offset:11264                   // 000000011BB8: D9FE2C00 100000F9
	ds_read_b128 v[20:23], v249 offset:12288                   // 000000011BC0: D9FE3000 140000F9
	ds_read_b128 v[24:27], v249 offset:13312                   // 000000011BC8: D9FE3400 180000F9
	ds_read_b128 v[28:31], v249 offset:14336                   // 000000011BD0: D9FE3800 1C0000F9
	ds_read_b128 v[32:35], v249 offset:15360                   // 000000011BD8: D9FE3C00 200000F9
	ds_read_b128 v[36:39], v249 offset:16384                   // 000000011BE0: D9FE4000 240000F9
	ds_read_b128 v[40:43], v249 offset:17408                   // 000000011BE8: D9FE4400 280000F9
	ds_read_b128 v[44:47], v249 offset:18432                   // 000000011BF0: D9FE4800 2C0000F9
	ds_read_b128 v[48:51], v249 offset:19456                   // 000000011BF8: D9FE4C00 300000F9
	s_waitcnt vmcnt(0)                                         // 000000011C00: BF8C0F70
	s_waitcnt lgkmcnt(11)                                      // 000000011C04: BF8CCB7F
	v_mfma_f32_16x16x32_fp8_fp8 v[100:103], a[88:89], v[4:5], 0// 000000011C08: D3F30064 0A020958
	v_mfma_f32_16x16x32_fp8_fp8 v[104:107], a[104:105], v[4:5], 0// 000000011C10: D3F30068 0A020968
	v_mfma_f32_16x16x32_fp8_fp8 v[100:103], a[90:91], v[6:7], v[100:103]// 000000011C18: D3F30064 0D920D5A
	v_mfma_f32_16x16x32_fp8_fp8 v[104:107], a[106:107], v[6:7], v[104:107]// 000000011C20: D3F30068 0DA20D6A
	s_waitcnt lgkmcnt(10)                                      // 000000011C28: BF8CCA7F
	v_mfma_f32_16x16x32_fp8_fp8 v[100:103], a[92:93], v[8:9], v[100:103]// 000000011C2C: D3F30064 0D92115C
	v_mfma_f32_16x16x32_fp8_fp8 v[104:107], a[108:109], v[8:9], v[104:107]// 000000011C34: D3F30068 0DA2116C
	v_mfma_f32_16x16x32_fp8_fp8 v[100:103], a[94:95], v[10:11], v[100:103]// 000000011C3C: D3F30064 0D92155E
	v_mfma_f32_16x16x32_fp8_fp8 v[104:107], a[110:111], v[10:11], v[104:107]// 000000011C44: D3F30068 0DA2156E
	s_waitcnt lgkmcnt(9)                                       // 000000011C4C: BF8CC97F
	v_mfma_f32_16x16x32_fp8_fp8 v[100:103], a[96:97], v[12:13], v[100:103]// 000000011C50: D3F30064 0D921960
	v_mfma_f32_16x16x32_fp8_fp8 v[104:107], a[112:113], v[12:13], v[104:107]// 000000011C58: D3F30068 0DA21970
	v_mfma_f32_16x16x32_fp8_fp8 v[100:103], a[98:99], v[14:15], v[100:103]// 000000011C60: D3F30064 0D921D62
	v_mfma_f32_16x16x32_fp8_fp8 v[104:107], a[114:115], v[14:15], v[104:107]// 000000011C68: D3F30068 0DA21D72
	s_waitcnt lgkmcnt(8)                                       // 000000011C70: BF8CC87F
	v_mfma_f32_16x16x32_fp8_fp8 v[100:103], a[100:101], v[16:17], v[100:103]// 000000011C74: D3F30064 0D922164
	v_mfma_f32_16x16x32_fp8_fp8 v[104:107], a[116:117], v[16:17], v[104:107]// 000000011C7C: D3F30068 0DA22174
	v_mfma_f32_16x16x32_fp8_fp8 v[100:103], a[102:103], v[18:19], v[100:103]// 000000011C84: D3F30064 0D922566
	v_mfma_f32_16x16x32_fp8_fp8 v[104:107], a[118:119], v[18:19], v[104:107]// 000000011C8C: D3F30068 0DA22576
	s_waitcnt lgkmcnt(7)                                       // 000000011C94: BF8CC77F
	v_mfma_f32_16x16x32_fp8_fp8 v[108:111], a[88:89], v[20:21], 0// 000000011C98: D3F3006C 0A022958
	v_mfma_f32_16x16x32_fp8_fp8 v[112:115], a[104:105], v[20:21], 0// 000000011CA0: D3F30070 0A022968
	v_mfma_f32_16x16x32_fp8_fp8 v[108:111], a[90:91], v[22:23], v[108:111]// 000000011CA8: D3F3006C 0DB22D5A
	v_mfma_f32_16x16x32_fp8_fp8 v[112:115], a[106:107], v[22:23], v[112:115]// 000000011CB0: D3F30070 0DC22D6A
	s_waitcnt lgkmcnt(6)                                       // 000000011CB8: BF8CC67F
	v_mfma_f32_16x16x32_fp8_fp8 v[108:111], a[92:93], v[24:25], v[108:111]// 000000011CBC: D3F3006C 0DB2315C
	v_mfma_f32_16x16x32_fp8_fp8 v[112:115], a[108:109], v[24:25], v[112:115]// 000000011CC4: D3F30070 0DC2316C
	v_mfma_f32_16x16x32_fp8_fp8 v[108:111], a[94:95], v[26:27], v[108:111]// 000000011CCC: D3F3006C 0DB2355E
	v_mfma_f32_16x16x32_fp8_fp8 v[112:115], a[110:111], v[26:27], v[112:115]// 000000011CD4: D3F30070 0DC2356E
	s_waitcnt lgkmcnt(5)                                       // 000000011CDC: BF8CC57F
	v_mfma_f32_16x16x32_fp8_fp8 v[108:111], a[96:97], v[28:29], v[108:111]// 000000011CE0: D3F3006C 0DB23960
	v_mfma_f32_16x16x32_fp8_fp8 v[112:115], a[112:113], v[28:29], v[112:115]// 000000011CE8: D3F30070 0DC23970
	v_mfma_f32_16x16x32_fp8_fp8 v[108:111], a[98:99], v[30:31], v[108:111]// 000000011CF0: D3F3006C 0DB23D62
	v_mfma_f32_16x16x32_fp8_fp8 v[112:115], a[114:115], v[30:31], v[112:115]// 000000011CF8: D3F30070 0DC23D72
	s_waitcnt lgkmcnt(4)                                       // 000000011D00: BF8CC47F
	v_mfma_f32_16x16x32_fp8_fp8 v[108:111], a[100:101], v[32:33], v[108:111]// 000000011D04: D3F3006C 0DB24164
	v_mfma_f32_16x16x32_fp8_fp8 v[112:115], a[116:117], v[32:33], v[112:115]// 000000011D0C: D3F30070 0DC24174
	v_mfma_f32_16x16x32_fp8_fp8 v[108:111], a[102:103], v[34:35], v[108:111]// 000000011D14: D3F3006C 0DB24566
	v_mfma_f32_16x16x32_fp8_fp8 v[112:115], a[118:119], v[34:35], v[112:115]// 000000011D1C: D3F30070 0DC24576
	s_waitcnt lgkmcnt(3)                                       // 000000011D24: BF8CC37F
	v_mfma_f32_16x16x32_fp8_fp8 v[116:119], a[88:89], v[36:37], 0// 000000011D28: D3F30074 0A024958
	v_mfma_f32_16x16x32_fp8_fp8 v[120:123], a[104:105], v[36:37], 0// 000000011D30: D3F30078 0A024968
	v_mfma_f32_16x16x32_fp8_fp8 v[116:119], a[90:91], v[38:39], v[116:119]// 000000011D38: D3F30074 0DD24D5A
	v_mfma_f32_16x16x32_fp8_fp8 v[120:123], a[106:107], v[38:39], v[120:123]// 000000011D40: D3F30078 0DE24D6A
	s_waitcnt lgkmcnt(2)                                       // 000000011D48: BF8CC27F
	v_mfma_f32_16x16x32_fp8_fp8 v[116:119], a[92:93], v[40:41], v[116:119]// 000000011D4C: D3F30074 0DD2515C
	v_mfma_f32_16x16x32_fp8_fp8 v[120:123], a[108:109], v[40:41], v[120:123]// 000000011D54: D3F30078 0DE2516C
	v_mfma_f32_16x16x32_fp8_fp8 v[116:119], a[94:95], v[42:43], v[116:119]// 000000011D5C: D3F30074 0DD2555E
	v_mfma_f32_16x16x32_fp8_fp8 v[120:123], a[110:111], v[42:43], v[120:123]// 000000011D64: D3F30078 0DE2556E
	s_waitcnt lgkmcnt(1)                                       // 000000011D6C: BF8CC17F
	v_mfma_f32_16x16x32_fp8_fp8 v[116:119], a[96:97], v[44:45], v[116:119]// 000000011D70: D3F30074 0DD25960
	v_mfma_f32_16x16x32_fp8_fp8 v[120:123], a[112:113], v[44:45], v[120:123]// 000000011D78: D3F30078 0DE25970
	v_mfma_f32_16x16x32_fp8_fp8 v[116:119], a[98:99], v[46:47], v[116:119]// 000000011D80: D3F30074 0DD25D62
	v_mfma_f32_16x16x32_fp8_fp8 v[120:123], a[114:115], v[46:47], v[120:123]// 000000011D88: D3F30078 0DE25D72
	s_waitcnt lgkmcnt(0)                                       // 000000011D90: BF8CC07F
	v_mfma_f32_16x16x32_fp8_fp8 v[116:119], a[100:101], v[48:49], v[116:119]// 000000011D94: D3F30074 0DD26164
	v_mfma_f32_16x16x32_fp8_fp8 v[120:123], a[116:117], v[48:49], v[120:123]// 000000011D9C: D3F30078 0DE26174
	v_mfma_f32_16x16x32_fp8_fp8 v[116:119], a[102:103], v[50:51], v[116:119]// 000000011DA4: D3F30074 0DD26566
	v_mfma_f32_16x16x32_fp8_fp8 v[120:123], a[118:119], v[50:51], v[120:123]// 000000011DAC: D3F30078 0DE26576
	s_branch label_4447                                        // 000000011DB4: BF820519

0000000000011db8 <label_3F2E>:
	s_waitcnt vmcnt(10)                                        // 000000011DB8: BF8C0F7A
	v_mfma_f32_16x16x32_fp8_fp8 v[4:7], a[56:57], a[0:1], 0    // 000000011DBC: D3F30004 1A020138
	v_mfma_f32_16x16x32_fp8_fp8 v[4:7], a[58:59], a[2:3], v[4:7]// 000000011DC4: D3F30004 1C12053A
	v_mfma_f32_16x16x32_fp8_fp8 v[4:7], a[60:61], a[4:5], v[4:7]// 000000011DCC: D3F30004 1C12093C
	v_mfma_f32_16x16x32_fp8_fp8 v[4:7], a[62:63], a[6:7], v[4:7]// 000000011DD4: D3F30004 1C120D3E
	v_mfma_f32_16x16x32_fp8_fp8 v[8:11], a[64:65], a[0:1], 0   // 000000011DDC: D3F30008 1A020140
	v_mfma_f32_16x16x32_fp8_fp8 v[8:11], a[66:67], a[2:3], v[8:11]// 000000011DE4: D3F30008 1C220542
	v_mfma_f32_16x16x32_fp8_fp8 v[8:11], a[68:69], a[4:5], v[8:11]// 000000011DEC: D3F30008 1C220944
	v_mfma_f32_16x16x32_fp8_fp8 v[8:11], a[70:71], a[6:7], v[8:11]// 000000011DF4: D3F30008 1C220D46
	v_mfma_f32_16x16x32_fp8_fp8 v[12:15], a[72:73], a[0:1], 0  // 000000011DFC: D3F3000C 1A020148
	v_mfma_f32_16x16x32_fp8_fp8 v[12:15], a[74:75], a[2:3], v[12:15]// 000000011E04: D3F3000C 1C32054A
	v_mfma_f32_16x16x32_fp8_fp8 v[12:15], a[76:77], a[4:5], v[12:15]// 000000011E0C: D3F3000C 1C32094C
	v_mfma_f32_16x16x32_fp8_fp8 v[12:15], a[78:79], a[6:7], v[12:15]// 000000011E14: D3F3000C 1C320D4E
	v_mfma_f32_16x16x32_fp8_fp8 v[16:19], a[80:81], a[0:1], 0  // 000000011E1C: D3F30010 1A020150
	v_mfma_f32_16x16x32_fp8_fp8 v[16:19], a[82:83], a[2:3], v[16:19]// 000000011E24: D3F30010 1C420552
	v_mfma_f32_16x16x32_fp8_fp8 v[16:19], a[84:85], a[4:5], v[16:19]// 000000011E2C: D3F30010 1C420954
	v_mfma_f32_16x16x32_fp8_fp8 v[16:19], a[86:87], a[6:7], v[16:19]// 000000011E34: D3F30010 1C420D56
	v_mfma_f32_16x16x32_fp8_fp8 v[20:23], a[56:57], a[8:9], 0  // 000000011E3C: D3F30014 1A021138
	v_mfma_f32_16x16x32_fp8_fp8 v[20:23], a[58:59], a[10:11], v[20:23]// 000000011E44: D3F30014 1C52153A
	v_mfma_f32_16x16x32_fp8_fp8 v[20:23], a[60:61], a[12:13], v[20:23]// 000000011E4C: D3F30014 1C52193C
	v_mfma_f32_16x16x32_fp8_fp8 v[20:23], a[62:63], a[14:15], v[20:23]// 000000011E54: D3F30014 1C521D3E
	v_mfma_f32_16x16x32_fp8_fp8 v[24:27], a[64:65], a[8:9], 0  // 000000011E5C: D3F30018 1A021140
	v_mfma_f32_16x16x32_fp8_fp8 v[24:27], a[66:67], a[10:11], v[24:27]// 000000011E64: D3F30018 1C621542
	v_mfma_f32_16x16x32_fp8_fp8 v[24:27], a[68:69], a[12:13], v[24:27]// 000000011E6C: D3F30018 1C621944
	v_mfma_f32_16x16x32_fp8_fp8 v[24:27], a[70:71], a[14:15], v[24:27]// 000000011E74: D3F30018 1C621D46
	v_mfma_f32_16x16x32_fp8_fp8 v[28:31], a[72:73], a[8:9], 0  // 000000011E7C: D3F3001C 1A021148
	v_mfma_f32_16x16x32_fp8_fp8 v[28:31], a[74:75], a[10:11], v[28:31]// 000000011E84: D3F3001C 1C72154A
	v_mfma_f32_16x16x32_fp8_fp8 v[28:31], a[76:77], a[12:13], v[28:31]// 000000011E8C: D3F3001C 1C72194C
	v_mfma_f32_16x16x32_fp8_fp8 v[28:31], a[78:79], a[14:15], v[28:31]// 000000011E94: D3F3001C 1C721D4E
	v_mfma_f32_16x16x32_fp8_fp8 v[32:35], a[80:81], a[8:9], 0  // 000000011E9C: D3F30020 1A021150
	v_mfma_f32_16x16x32_fp8_fp8 v[32:35], a[82:83], a[10:11], v[32:35]// 000000011EA4: D3F30020 1C821552
	v_mfma_f32_16x16x32_fp8_fp8 v[32:35], a[84:85], a[12:13], v[32:35]// 000000011EAC: D3F30020 1C821954
	v_mfma_f32_16x16x32_fp8_fp8 v[32:35], a[86:87], a[14:15], v[32:35]// 000000011EB4: D3F30020 1C821D56
	v_mfma_f32_16x16x32_fp8_fp8 v[36:39], a[56:57], a[16:17], 0// 000000011EBC: D3F30024 1A022138
	v_mfma_f32_16x16x32_fp8_fp8 v[36:39], a[58:59], a[18:19], v[36:39]// 000000011EC4: D3F30024 1C92253A
	v_mfma_f32_16x16x32_fp8_fp8 v[36:39], a[60:61], a[20:21], v[36:39]// 000000011ECC: D3F30024 1C92293C
	v_mfma_f32_16x16x32_fp8_fp8 v[36:39], a[62:63], a[22:23], v[36:39]// 000000011ED4: D3F30024 1C922D3E
	v_mfma_f32_16x16x32_fp8_fp8 v[40:43], a[64:65], a[16:17], 0// 000000011EDC: D3F30028 1A022140
	v_mfma_f32_16x16x32_fp8_fp8 v[40:43], a[66:67], a[18:19], v[40:43]// 000000011EE4: D3F30028 1CA22542
	v_mfma_f32_16x16x32_fp8_fp8 v[40:43], a[68:69], a[20:21], v[40:43]// 000000011EEC: D3F30028 1CA22944
	v_mfma_f32_16x16x32_fp8_fp8 v[40:43], a[70:71], a[22:23], v[40:43]// 000000011EF4: D3F30028 1CA22D46
	v_mfma_f32_16x16x32_fp8_fp8 v[44:47], a[72:73], a[16:17], 0// 000000011EFC: D3F3002C 1A022148
	v_mfma_f32_16x16x32_fp8_fp8 v[44:47], a[74:75], a[18:19], v[44:47]// 000000011F04: D3F3002C 1CB2254A
	v_mfma_f32_16x16x32_fp8_fp8 v[44:47], a[76:77], a[20:21], v[44:47]// 000000011F0C: D3F3002C 1CB2294C
	v_mfma_f32_16x16x32_fp8_fp8 v[44:47], a[78:79], a[22:23], v[44:47]// 000000011F14: D3F3002C 1CB22D4E
	v_mfma_f32_16x16x32_fp8_fp8 v[48:51], a[80:81], a[16:17], 0// 000000011F1C: D3F30030 1A022150
	v_mfma_f32_16x16x32_fp8_fp8 v[48:51], a[82:83], a[18:19], v[48:51]// 000000011F24: D3F30030 1CC22552
	v_mfma_f32_16x16x32_fp8_fp8 v[48:51], a[84:85], a[20:21], v[48:51]// 000000011F2C: D3F30030 1CC22954
	v_mfma_f32_16x16x32_fp8_fp8 v[48:51], a[86:87], a[22:23], v[48:51]// 000000011F34: D3F30030 1CC22D56
	s_waitcnt vmcnt(8)                                         // 000000011F3C: BF8C0F78
	v_or_b32_dpp v36, v44, v36 row_shr:8 row_mask:0xf bank_mask:0xf bound_ctrl:1// 000000011F40: 284848FA FF09182C
	v_or_b32_dpp v37, v45, v37 row_shr:8 row_mask:0xf bank_mask:0xf bound_ctrl:1// 000000011F48: 284A4AFA FF09182D
	v_or_b32_dpp v38, v46, v38 row_shr:8 row_mask:0xf bank_mask:0xf bound_ctrl:1// 000000011F50: 284C4CFA FF09182E
	v_or_b32_dpp v39, v47, v39 row_shr:8 row_mask:0xf bank_mask:0xf bound_ctrl:1// 000000011F58: 284E4EFA FF09182F
	v_or_b32_dpp v40, v48, v40 row_shr:8 row_mask:0xf bank_mask:0xf bound_ctrl:1// 000000011F60: 285050FA FF091830
	v_or_b32_dpp v41, v49, v41 row_shr:8 row_mask:0xf bank_mask:0xf bound_ctrl:1// 000000011F68: 285252FA FF091831
	v_or_b32_dpp v42, v50, v42 row_shr:8 row_mask:0xf bank_mask:0xf bound_ctrl:1// 000000011F70: 285454FA FF091832
	v_or_b32_dpp v43, v51, v43 row_shr:8 row_mask:0xf bank_mask:0xf bound_ctrl:1// 000000011F78: 285656FA FF091833
	v_mov_b32_dpp v168, v155 row_shr:4 row_mask:0xf bank_mask:0xf// 000000011F80: 7F5002FA FF01149B
	v_mov_b32_dpp v169, v155 row_shl:4 row_mask:0xf bank_mask:0xf// 000000011F88: 7F5202FA FF01049B
	v_cndmask_b32_e64 v164, v155, v168, s[90:91]               // 000000011F90: D10000A4 016B519B
	v_cndmask_b32_e64 v165, v169, v155, s[90:91]               // 000000011F98: D10000A5 016B37A9
	v_mov_b32_dpp v168, v157 row_shr:4 row_mask:0xf bank_mask:0xf// 000000011FA0: 7F5002FA FF01149D
	v_mov_b32_dpp v169, v157 row_shl:4 row_mask:0xf bank_mask:0xf// 000000011FA8: 7F5202FA FF01049D
	v_cndmask_b32_e64 v166, v157, v168, s[90:91]               // 000000011FB0: D10000A6 016B519D
	v_cndmask_b32_e64 v167, v169, v157, s[90:91]               // 000000011FB8: D10000A7 016B3BA9
	v_pk_mul_f32 v[4:5], v[148:149], v[4:5]                    // 000000011FC0: D3B14004 18020994
	v_pk_mul_f32 v[6:7], v[148:149], v[6:7]                    // 000000011FC8: D3B14006 18020D94
	v_pk_mul_f32 v[8:9], v[148:149], v[8:9]                    // 000000011FD0: D3B14008 18021194
	v_pk_mul_f32 v[10:11], v[148:149], v[10:11]                // 000000011FD8: D3B1400A 18021594
	v_pk_mul_f32 v[12:13], v[148:149], v[12:13]                // 000000011FE0: D3B1400C 18021994
	v_pk_mul_f32 v[14:15], v[148:149], v[14:15]                // 000000011FE8: D3B1400E 18021D94
	v_pk_mul_f32 v[16:17], v[148:149], v[16:17]                // 000000011FF0: D3B14010 18022194
	v_pk_mul_f32 v[18:19], v[148:149], v[18:19]                // 000000011FF8: D3B14012 18022594
	v_mul_f32_dpp v4, v155, v4 row_newbcast:0 row_mask:0xf bank_mask:0xf// 000000012000: 0A0808FA FF01509B
	v_mul_f32_dpp v5, v155, v5 row_newbcast:1 row_mask:0xf bank_mask:0xf// 000000012008: 0A0A0AFA FF01519B
	v_mul_f32_dpp v6, v155, v6 row_newbcast:2 row_mask:0xf bank_mask:0xf// 000000012010: 0A0C0CFA FF01529B
	v_mul_f32_dpp v7, v155, v7 row_newbcast:3 row_mask:0xf bank_mask:0xf// 000000012018: 0A0E0EFA FF01539B
	v_mul_f32_dpp v8, v155, v8 row_newbcast:4 row_mask:0xf bank_mask:0xf// 000000012020: 0A1010FA FF01549B
	v_mul_f32_dpp v9, v155, v9 row_newbcast:5 row_mask:0xf bank_mask:0xf// 000000012028: 0A1212FA FF01559B
	v_mul_f32_dpp v10, v155, v10 row_newbcast:6 row_mask:0xf bank_mask:0xf// 000000012030: 0A1414FA FF01569B
	v_mul_f32_dpp v11, v155, v11 row_newbcast:7 row_mask:0xf bank_mask:0xf// 000000012038: 0A1616FA FF01579B
	v_mul_f32_dpp v12, v155, v12 row_newbcast:8 row_mask:0xf bank_mask:0xf// 000000012040: 0A1818FA FF01589B
	v_mul_f32_dpp v13, v155, v13 row_newbcast:9 row_mask:0xf bank_mask:0xf// 000000012048: 0A1A1AFA FF01599B
	v_mul_f32_dpp v14, v155, v14 row_newbcast:10 row_mask:0xf bank_mask:0xf// 000000012050: 0A1C1CFA FF015A9B
	v_mul_f32_dpp v15, v155, v15 row_newbcast:11 row_mask:0xf bank_mask:0xf// 000000012058: 0A1E1EFA FF015B9B
	v_mul_f32_dpp v16, v155, v16 row_newbcast:12 row_mask:0xf bank_mask:0xf// 000000012060: 0A2020FA FF015C9B
	v_mul_f32_dpp v17, v155, v17 row_newbcast:13 row_mask:0xf bank_mask:0xf// 000000012068: 0A2222FA FF015D9B
	v_mul_f32_dpp v18, v155, v18 row_newbcast:14 row_mask:0xf bank_mask:0xf// 000000012070: 0A2424FA FF015E9B
	v_mul_f32_dpp v19, v155, v19 row_newbcast:15 row_mask:0xf bank_mask:0xf// 000000012078: 0A2626FA FF015F9B
	v_pk_mul_f32 v[20:21], v[150:151], v[20:21]                // 000000012080: D3B14014 18022996
	v_pk_mul_f32 v[22:23], v[150:151], v[22:23]                // 000000012088: D3B14016 18022D96
	v_pk_mul_f32 v[24:25], v[150:151], v[24:25]                // 000000012090: D3B14018 18023196
	v_pk_mul_f32 v[26:27], v[150:151], v[26:27]                // 000000012098: D3B1401A 18023596
	v_pk_mul_f32 v[28:29], v[150:151], v[28:29]                // 0000000120A0: D3B1401C 18023996
	v_pk_mul_f32 v[30:31], v[150:151], v[30:31]                // 0000000120A8: D3B1401E 18023D96
	v_pk_mul_f32 v[32:33], v[150:151], v[32:33]                // 0000000120B0: D3B14020 18024196
	v_pk_mul_f32 v[34:35], v[150:151], v[34:35]                // 0000000120B8: D3B14022 18024596
	v_mul_f32_dpp v20, v155, v20 row_newbcast:0 row_mask:0xf bank_mask:0xf// 0000000120C0: 0A2828FA FF01509B
	v_mul_f32_dpp v21, v155, v21 row_newbcast:1 row_mask:0xf bank_mask:0xf// 0000000120C8: 0A2A2AFA FF01519B
	v_mul_f32_dpp v22, v155, v22 row_newbcast:2 row_mask:0xf bank_mask:0xf// 0000000120D0: 0A2C2CFA FF01529B
	v_mul_f32_dpp v23, v155, v23 row_newbcast:3 row_mask:0xf bank_mask:0xf// 0000000120D8: 0A2E2EFA FF01539B
	v_mul_f32_dpp v24, v155, v24 row_newbcast:4 row_mask:0xf bank_mask:0xf// 0000000120E0: 0A3030FA FF01549B
	v_mul_f32_dpp v25, v155, v25 row_newbcast:5 row_mask:0xf bank_mask:0xf// 0000000120E8: 0A3232FA FF01559B
	v_mul_f32_dpp v26, v155, v26 row_newbcast:6 row_mask:0xf bank_mask:0xf// 0000000120F0: 0A3434FA FF01569B
	v_mul_f32_dpp v27, v155, v27 row_newbcast:7 row_mask:0xf bank_mask:0xf// 0000000120F8: 0A3636FA FF01579B
	v_mul_f32_dpp v28, v155, v28 row_newbcast:8 row_mask:0xf bank_mask:0xf// 000000012100: 0A3838FA FF01589B
	v_mul_f32_dpp v29, v155, v29 row_newbcast:9 row_mask:0xf bank_mask:0xf// 000000012108: 0A3A3AFA FF01599B
	v_mul_f32_dpp v30, v155, v30 row_newbcast:10 row_mask:0xf bank_mask:0xf// 000000012110: 0A3C3CFA FF015A9B
	v_mul_f32_dpp v31, v155, v31 row_newbcast:11 row_mask:0xf bank_mask:0xf// 000000012118: 0A3E3EFA FF015B9B
	v_mul_f32_dpp v32, v155, v32 row_newbcast:12 row_mask:0xf bank_mask:0xf// 000000012120: 0A4040FA FF015C9B
	v_mul_f32_dpp v33, v155, v33 row_newbcast:13 row_mask:0xf bank_mask:0xf// 000000012128: 0A4242FA FF015D9B
	v_mul_f32_dpp v34, v155, v34 row_newbcast:14 row_mask:0xf bank_mask:0xf// 000000012130: 0A4444FA FF015E9B
	v_mul_f32_dpp v35, v155, v35 row_newbcast:15 row_mask:0xf bank_mask:0xf// 000000012138: 0A4646FA FF015F9B
	v_pk_mul_f32 v[36:37], v[152:153], v[36:37]                // 000000012140: D3B14024 18024998
	v_pk_mul_f32 v[38:39], v[152:153], v[38:39]                // 000000012148: D3B14026 18024D98
	v_pk_mul_f32 v[40:41], v[152:153], v[40:41]                // 000000012150: D3B14028 18025198
	v_pk_mul_f32 v[42:43], v[152:153], v[42:43]                // 000000012158: D3B1402A 18025598
	v_mul_f32_dpp v36, v164, v36 quad_perm:[0,0,0,0] row_mask:0xf bank_mask:0xf// 000000012160: 0A4848FA FF0000A4
	v_mul_f32_dpp v37, v164, v37 quad_perm:[1,1,1,1] row_mask:0xf bank_mask:0xf// 000000012168: 0A4A4AFA FF0055A4
	v_mul_f32_dpp v38, v164, v38 quad_perm:[2,2,2,2] row_mask:0xf bank_mask:0xf// 000000012170: 0A4C4CFA FF00AAA4
	v_mul_f32_dpp v39, v164, v39 quad_perm:[3,3,3,3] row_mask:0xf bank_mask:0xf// 000000012178: 0A4E4EFA FF00FFA4
	v_mul_f32_dpp v40, v165, v40 quad_perm:[0,0,0,0] row_mask:0xf bank_mask:0xf// 000000012180: 0A5050FA FF0000A5
	v_mul_f32_dpp v41, v165, v41 quad_perm:[1,1,1,1] row_mask:0xf bank_mask:0xf// 000000012188: 0A5252FA FF0055A5
	v_mul_f32_dpp v42, v165, v42 quad_perm:[2,2,2,2] row_mask:0xf bank_mask:0xf// 000000012190: 0A5454FA FF00AAA5
	v_mul_f32_dpp v43, v165, v43 quad_perm:[3,3,3,3] row_mask:0xf bank_mask:0xf// 000000012198: 0A5656FA FF00FFA5
	v_add_u32_e32 v168, s49, v222                              // 0000000121A0: 6951BC31
	v_add_u32_e32 v169, 0, v168                                // 0000000121A4: 69535080
	v_cmp_lt_u32_e64 s[84:85], v169, v219                      // 0000000121A8: D0C90054 0003B7A9
	s_nop 0                                                    // 0000000121B0: BF800000
	v_cndmask_b32_e64 v4, v225, v4, s[84:85]                   // 0000000121B4: D1000004 015209E1
	v_add_u32_e32 v169, 1, v168                                // 0000000121BC: 69535081
	v_cmp_lt_u32_e64 s[84:85], v169, v219                      // 0000000121C0: D0C90054 0003B7A9
	s_nop 0                                                    // 0000000121C8: BF800000
	v_cndmask_b32_e64 v5, v225, v5, s[84:85]                   // 0000000121CC: D1000005 01520BE1
	v_add_u32_e32 v169, 2, v168                                // 0000000121D4: 69535082
	v_cmp_lt_u32_e64 s[84:85], v169, v219                      // 0000000121D8: D0C90054 0003B7A9
	s_nop 0                                                    // 0000000121E0: BF800000
	v_cndmask_b32_e64 v6, v225, v6, s[84:85]                   // 0000000121E4: D1000006 01520DE1
	v_add_u32_e32 v169, 3, v168                                // 0000000121EC: 69535083
	v_cmp_lt_u32_e64 s[84:85], v169, v219                      // 0000000121F0: D0C90054 0003B7A9
	s_nop 0                                                    // 0000000121F8: BF800000
	v_cndmask_b32_e64 v7, v225, v7, s[84:85]                   // 0000000121FC: D1000007 01520FE1
	v_add_u32_e32 v169, 64, v168                               // 000000012204: 695350C0
	v_cmp_lt_u32_e64 s[84:85], v169, v219                      // 000000012208: D0C90054 0003B7A9
	s_nop 0                                                    // 000000012210: BF800000
	v_cndmask_b32_e64 v8, v225, v8, s[84:85]                   // 000000012214: D1000008 015211E1
	v_add_u32_e32 v169, 0x41, v168                             // 00000001221C: 695350FF 00000041
	v_cmp_lt_u32_e64 s[84:85], v169, v219                      // 000000012224: D0C90054 0003B7A9
	s_nop 0                                                    // 00000001222C: BF800000
	v_cndmask_b32_e64 v9, v225, v9, s[84:85]                   // 000000012230: D1000009 015213E1
	v_add_u32_e32 v169, 0x42, v168                             // 000000012238: 695350FF 00000042
	v_cmp_lt_u32_e64 s[84:85], v169, v219                      // 000000012240: D0C90054 0003B7A9
	s_nop 0                                                    // 000000012248: BF800000
	v_cndmask_b32_e64 v10, v225, v10, s[84:85]                 // 00000001224C: D100000A 015215E1
	v_add_u32_e32 v169, 0x43, v168                             // 000000012254: 695350FF 00000043
	v_cmp_lt_u32_e64 s[84:85], v169, v219                      // 00000001225C: D0C90054 0003B7A9
	s_nop 0                                                    // 000000012264: BF800000
	v_cndmask_b32_e64 v11, v225, v11, s[84:85]                 // 000000012268: D100000B 015217E1
	v_add_u32_e32 v169, 0x80, v168                             // 000000012270: 695350FF 00000080
	v_cmp_lt_u32_e64 s[84:85], v169, v219                      // 000000012278: D0C90054 0003B7A9
	s_nop 0                                                    // 000000012280: BF800000
	v_cndmask_b32_e64 v12, v225, v12, s[84:85]                 // 000000012284: D100000C 015219E1
	v_add_u32_e32 v169, 0x81, v168                             // 00000001228C: 695350FF 00000081
	v_cmp_lt_u32_e64 s[84:85], v169, v219                      // 000000012294: D0C90054 0003B7A9
	s_nop 0                                                    // 00000001229C: BF800000
	v_cndmask_b32_e64 v13, v225, v13, s[84:85]                 // 0000000122A0: D100000D 01521BE1
	v_add_u32_e32 v169, 0x82, v168                             // 0000000122A8: 695350FF 00000082
	v_cmp_lt_u32_e64 s[84:85], v169, v219                      // 0000000122B0: D0C90054 0003B7A9
	s_nop 0                                                    // 0000000122B8: BF800000
	v_cndmask_b32_e64 v14, v225, v14, s[84:85]                 // 0000000122BC: D100000E 01521DE1
	v_add_u32_e32 v169, 0x83, v168                             // 0000000122C4: 695350FF 00000083
	v_cmp_lt_u32_e64 s[84:85], v169, v219                      // 0000000122CC: D0C90054 0003B7A9
	s_nop 0                                                    // 0000000122D4: BF800000
	v_cndmask_b32_e64 v15, v225, v15, s[84:85]                 // 0000000122D8: D100000F 01521FE1
	v_add_u32_e32 v169, 0xc0, v168                             // 0000000122E0: 695350FF 000000C0
	v_cmp_lt_u32_e64 s[84:85], v169, v219                      // 0000000122E8: D0C90054 0003B7A9
	s_nop 0                                                    // 0000000122F0: BF800000
	v_cndmask_b32_e64 v16, v225, v16, s[84:85]                 // 0000000122F4: D1000010 015221E1
	v_add_u32_e32 v169, 0xc1, v168                             // 0000000122FC: 695350FF 000000C1
	v_cmp_lt_u32_e64 s[84:85], v169, v219                      // 000000012304: D0C90054 0003B7A9
	s_nop 0                                                    // 00000001230C: BF800000
	v_cndmask_b32_e64 v17, v225, v17, s[84:85]                 // 000000012310: D1000011 015223E1
	v_add_u32_e32 v169, 0xc2, v168                             // 000000012318: 695350FF 000000C2
	v_cmp_lt_u32_e64 s[84:85], v169, v219                      // 000000012320: D0C90054 0003B7A9
	s_nop 0                                                    // 000000012328: BF800000
	v_cndmask_b32_e64 v18, v225, v18, s[84:85]                 // 00000001232C: D1000012 015225E1
	v_add_u32_e32 v169, 0xc3, v168                             // 000000012334: 695350FF 000000C3
	v_cmp_lt_u32_e64 s[84:85], v169, v219                      // 00000001233C: D0C90054 0003B7A9
	s_nop 0                                                    // 000000012344: BF800000
	v_cndmask_b32_e64 v19, v225, v19, s[84:85]                 // 000000012348: D1000013 015227E1
	v_add_u32_e32 v169, 0, v168                                // 000000012350: 69535080
	v_cmp_lt_u32_e64 s[84:85], v169, v220                      // 000000012354: D0C90054 0003B9A9
	s_nop 0                                                    // 00000001235C: BF800000
	v_cndmask_b32_e64 v20, v225, v20, s[84:85]                 // 000000012360: D1000014 015229E1
	v_add_u32_e32 v169, 1, v168                                // 000000012368: 69535081
	v_cmp_lt_u32_e64 s[84:85], v169, v220                      // 00000001236C: D0C90054 0003B9A9
	s_nop 0                                                    // 000000012374: BF800000
	v_cndmask_b32_e64 v21, v225, v21, s[84:85]                 // 000000012378: D1000015 01522BE1
	v_add_u32_e32 v169, 2, v168                                // 000000012380: 69535082
	v_cmp_lt_u32_e64 s[84:85], v169, v220                      // 000000012384: D0C90054 0003B9A9
	s_nop 0                                                    // 00000001238C: BF800000
	v_cndmask_b32_e64 v22, v225, v22, s[84:85]                 // 000000012390: D1000016 01522DE1
	v_add_u32_e32 v169, 3, v168                                // 000000012398: 69535083
	v_cmp_lt_u32_e64 s[84:85], v169, v220                      // 00000001239C: D0C90054 0003B9A9
	s_nop 0                                                    // 0000000123A4: BF800000
	v_cndmask_b32_e64 v23, v225, v23, s[84:85]                 // 0000000123A8: D1000017 01522FE1
	v_add_u32_e32 v169, 64, v168                               // 0000000123B0: 695350C0
	v_cmp_lt_u32_e64 s[84:85], v169, v220                      // 0000000123B4: D0C90054 0003B9A9
	s_nop 0                                                    // 0000000123BC: BF800000
	v_cndmask_b32_e64 v24, v225, v24, s[84:85]                 // 0000000123C0: D1000018 015231E1
	v_add_u32_e32 v169, 0x41, v168                             // 0000000123C8: 695350FF 00000041
	v_cmp_lt_u32_e64 s[84:85], v169, v220                      // 0000000123D0: D0C90054 0003B9A9
	s_nop 0                                                    // 0000000123D8: BF800000
	v_cndmask_b32_e64 v25, v225, v25, s[84:85]                 // 0000000123DC: D1000019 015233E1
	v_add_u32_e32 v169, 0x42, v168                             // 0000000123E4: 695350FF 00000042
	v_cmp_lt_u32_e64 s[84:85], v169, v220                      // 0000000123EC: D0C90054 0003B9A9
	s_nop 0                                                    // 0000000123F4: BF800000
	v_cndmask_b32_e64 v26, v225, v26, s[84:85]                 // 0000000123F8: D100001A 015235E1
	v_add_u32_e32 v169, 0x43, v168                             // 000000012400: 695350FF 00000043
	v_cmp_lt_u32_e64 s[84:85], v169, v220                      // 000000012408: D0C90054 0003B9A9
	s_nop 0                                                    // 000000012410: BF800000
	v_cndmask_b32_e64 v27, v225, v27, s[84:85]                 // 000000012414: D100001B 015237E1
	v_add_u32_e32 v169, 0x80, v168                             // 00000001241C: 695350FF 00000080
	v_cmp_lt_u32_e64 s[84:85], v169, v220                      // 000000012424: D0C90054 0003B9A9
	s_nop 0                                                    // 00000001242C: BF800000
	v_cndmask_b32_e64 v28, v225, v28, s[84:85]                 // 000000012430: D100001C 015239E1
	v_add_u32_e32 v169, 0x81, v168                             // 000000012438: 695350FF 00000081
	v_cmp_lt_u32_e64 s[84:85], v169, v220                      // 000000012440: D0C90054 0003B9A9
	s_nop 0                                                    // 000000012448: BF800000
	v_cndmask_b32_e64 v29, v225, v29, s[84:85]                 // 00000001244C: D100001D 01523BE1
	v_add_u32_e32 v169, 0x82, v168                             // 000000012454: 695350FF 00000082
	v_cmp_lt_u32_e64 s[84:85], v169, v220                      // 00000001245C: D0C90054 0003B9A9
	s_nop 0                                                    // 000000012464: BF800000
	v_cndmask_b32_e64 v30, v225, v30, s[84:85]                 // 000000012468: D100001E 01523DE1
	v_add_u32_e32 v169, 0x83, v168                             // 000000012470: 695350FF 00000083
	v_cmp_lt_u32_e64 s[84:85], v169, v220                      // 000000012478: D0C90054 0003B9A9
	s_nop 0                                                    // 000000012480: BF800000
	v_cndmask_b32_e64 v31, v225, v31, s[84:85]                 // 000000012484: D100001F 01523FE1
	v_add_u32_e32 v169, 0xc0, v168                             // 00000001248C: 695350FF 000000C0
	v_cmp_lt_u32_e64 s[84:85], v169, v220                      // 000000012494: D0C90054 0003B9A9
	s_nop 0                                                    // 00000001249C: BF800000
	v_cndmask_b32_e64 v32, v225, v32, s[84:85]                 // 0000000124A0: D1000020 015241E1
	v_add_u32_e32 v169, 0xc1, v168                             // 0000000124A8: 695350FF 000000C1
	v_cmp_lt_u32_e64 s[84:85], v169, v220                      // 0000000124B0: D0C90054 0003B9A9
	s_nop 0                                                    // 0000000124B8: BF800000
	v_cndmask_b32_e64 v33, v225, v33, s[84:85]                 // 0000000124BC: D1000021 015243E1
	v_add_u32_e32 v169, 0xc2, v168                             // 0000000124C4: 695350FF 000000C2
	v_cmp_lt_u32_e64 s[84:85], v169, v220                      // 0000000124CC: D0C90054 0003B9A9
	s_nop 0                                                    // 0000000124D4: BF800000
	v_cndmask_b32_e64 v34, v225, v34, s[84:85]                 // 0000000124D8: D1000022 015245E1
	v_add_u32_e32 v169, 0xc3, v168                             // 0000000124E0: 695350FF 000000C3
	v_cmp_lt_u32_e64 s[84:85], v169, v220                      // 0000000124E8: D0C90054 0003B9A9
	s_nop 0                                                    // 0000000124F0: BF800000
	v_cndmask_b32_e64 v35, v225, v35, s[84:85]                 // 0000000124F4: D1000023 015247E1
	v_add_u32_e32 v168, s49, v223                              // 0000000124FC: 6951BE31
	v_add_u32_e32 v169, 0, v168                                // 000000012500: 69535080
	v_cmp_lt_u32_e64 s[84:85], v169, v221                      // 000000012504: D0C90054 0003BBA9
	s_nop 0                                                    // 00000001250C: BF800000
	v_cndmask_b32_e64 v36, v225, v36, s[84:85]                 // 000000012510: D1000024 015249E1
	v_add_u32_e32 v169, 1, v168                                // 000000012518: 69535081
	v_cmp_lt_u32_e64 s[84:85], v169, v221                      // 00000001251C: D0C90054 0003BBA9
	s_nop 0                                                    // 000000012524: BF800000
	v_cndmask_b32_e64 v37, v225, v37, s[84:85]                 // 000000012528: D1000025 01524BE1
	v_add_u32_e32 v169, 2, v168                                // 000000012530: 69535082
	v_cmp_lt_u32_e64 s[84:85], v169, v221                      // 000000012534: D0C90054 0003BBA9
	s_nop 0                                                    // 00000001253C: BF800000
	v_cndmask_b32_e64 v38, v225, v38, s[84:85]                 // 000000012540: D1000026 01524DE1
	v_add_u32_e32 v169, 3, v168                                // 000000012548: 69535083
	v_cmp_lt_u32_e64 s[84:85], v169, v221                      // 00000001254C: D0C90054 0003BBA9
	s_nop 0                                                    // 000000012554: BF800000
	v_cndmask_b32_e64 v39, v225, v39, s[84:85]                 // 000000012558: D1000027 01524FE1
	v_add_u32_e32 v169, 64, v168                               // 000000012560: 695350C0
	v_cmp_lt_u32_e64 s[84:85], v169, v221                      // 000000012564: D0C90054 0003BBA9
	s_nop 0                                                    // 00000001256C: BF800000
	v_cndmask_b32_e64 v40, v225, v40, s[84:85]                 // 000000012570: D1000028 015251E1
	v_add_u32_e32 v169, 0x41, v168                             // 000000012578: 695350FF 00000041
	v_cmp_lt_u32_e64 s[84:85], v169, v221                      // 000000012580: D0C90054 0003BBA9
	s_nop 0                                                    // 000000012588: BF800000
	v_cndmask_b32_e64 v41, v225, v41, s[84:85]                 // 00000001258C: D1000029 015253E1
	v_add_u32_e32 v169, 0x42, v168                             // 000000012594: 695350FF 00000042
	v_cmp_lt_u32_e64 s[84:85], v169, v221                      // 00000001259C: D0C90054 0003BBA9
	s_nop 0                                                    // 0000000125A4: BF800000
	v_cndmask_b32_e64 v42, v225, v42, s[84:85]                 // 0000000125A8: D100002A 015255E1
	v_add_u32_e32 v169, 0x43, v168                             // 0000000125B0: 695350FF 00000043
	v_cmp_lt_u32_e64 s[84:85], v169, v221                      // 0000000125B8: D0C90054 0003BBA9
	s_nop 0                                                    // 0000000125C0: BF800000
	v_cndmask_b32_e64 v43, v225, v43, s[84:85]                 // 0000000125C4: D100002B 015257E1
	v_mov_b32_e32 v190, v36                                    // 0000000125CC: 7F7C0324
	v_max3_f32 v190, v36, v37, v190                            // 0000000125D0: D1D300BE 06FA4B24
	v_max3_f32 v190, v38, v39, v190                            // 0000000125D8: D1D300BE 06FA4F26
	v_max3_f32 v190, v40, v41, v190                            // 0000000125E0: D1D300BE 06FA5328
	v_max3_f32 v190, v42, v43, v190                            // 0000000125E8: D1D300BE 06FA572A
	v_mov_b32_e32 v189, v20                                    // 0000000125F0: 7F7A0314
	v_max3_f32 v189, v20, v21, v189                            // 0000000125F4: D1D300BD 06F62B14
	v_max3_f32 v189, v22, v23, v189                            // 0000000125FC: D1D300BD 06F62F16
	v_max3_f32 v189, v24, v25, v189                            // 000000012604: D1D300BD 06F63318
	v_max3_f32 v189, v26, v27, v189                            // 00000001260C: D1D300BD 06F6371A
	v_max3_f32 v189, v28, v29, v189                            // 000000012614: D1D300BD 06F63B1C
	v_max3_f32 v189, v30, v31, v189                            // 00000001261C: D1D300BD 06F63F1E
	v_max3_f32 v189, v32, v33, v189                            // 000000012624: D1D300BD 06F64320
	v_max3_f32 v189, v34, v35, v189                            // 00000001262C: D1D300BD 06F64722
	v_mov_b32_e32 v188, v4                                     // 000000012634: 7F780304
	v_max3_f32 v188, v4, v5, v188                              // 000000012638: D1D300BC 06F20B04
	v_max3_f32 v188, v6, v7, v188                              // 000000012640: D1D300BC 06F20F06
	v_max3_f32 v188, v8, v9, v188                              // 000000012648: D1D300BC 06F21308
	v_max3_f32 v188, v10, v11, v188                            // 000000012650: D1D300BC 06F2170A
	v_max3_f32 v188, v12, v13, v188                            // 000000012658: D1D300BC 06F21B0C
	v_max3_f32 v188, v14, v15, v188                            // 000000012660: D1D300BC 06F21F0E
	v_max3_f32 v188, v16, v17, v188                            // 000000012668: D1D300BC 06F22310
	v_max3_f32 v188, v18, v19, v188                            // 000000012670: D1D300BC 06F22712
	v_max_f32_dpp v190, v190, v190 row_ror:8 row_mask:0xf bank_mask:0xf// 000000012678: 177D7CFA FF0128BE
	ds_bpermute_b32 v172, v212, v188                           // 000000012680: D87E0000 AC00BCD4
	ds_bpermute_b32 v173, v213, v188                           // 000000012688: D87E0000 AD00BCD5
	ds_bpermute_b32 v174, v214, v188                           // 000000012690: D87E0000 AE00BCD6
	ds_bpermute_b32 v175, v212, v189                           // 000000012698: D87E0000 AF00BDD4
	ds_bpermute_b32 v176, v213, v189                           // 0000000126A0: D87E0000 B000BDD5
	ds_bpermute_b32 v177, v214, v189                           // 0000000126A8: D87E0000 B100BDD6
	ds_bpermute_b32 v178, v212, v190                           // 0000000126B0: D87E0000 B200BED4
	ds_bpermute_b32 v179, v213, v190                           // 0000000126B8: D87E0000 B300BED5
	ds_bpermute_b32 v180, v214, v190                           // 0000000126C0: D87E0000 B400BED6
	v_pk_mul_f32 v[124:125], v[200:201], v[124:125]            // 0000000126C8: D3B1407C 1802F9C8
	v_pk_mul_f32 v[126:127], v[200:201], v[126:127]            // 0000000126D0: D3B1407E 1802FDC8
	v_pk_mul_f32 v[128:129], v[200:201], v[128:129]            // 0000000126D8: D3B14080 180301C8
	v_pk_mul_f32 v[130:131], v[200:201], v[130:131]            // 0000000126E0: D3B14082 180305C8
	v_pk_mul_f32 v[132:133], v[202:203], v[132:133]            // 0000000126E8: D3B14084 180309CA
	v_pk_mul_f32 v[134:135], v[202:203], v[134:135]            // 0000000126F0: D3B14086 18030DCA
	v_pk_mul_f32 v[136:137], v[202:203], v[136:137]            // 0000000126F8: D3B14088 180311CA
	v_pk_mul_f32 v[138:139], v[202:203], v[138:139]            // 000000012700: D3B1408A 180315CA
	v_pk_mul_f32 v[140:141], v[204:205], v[140:141]            // 000000012708: D3B1408C 180319CC
	v_pk_mul_f32 v[142:143], v[204:205], v[142:143]            // 000000012710: D3B1408E 18031DCC
	v_pk_mul_f32 v[144:145], v[204:205], v[144:145]            // 000000012718: D3B14090 180321CC
	v_pk_mul_f32 v[146:147], v[204:205], v[146:147]            // 000000012720: D3B14092 180325CC
	s_waitcnt lgkmcnt(6)                                       // 000000012728: BF8CC67F
	v_max3_f32 v188, v172, v173, v188                          // 00000001272C: D1D300BC 06F35BAC
	v_max_f32_e32 v188, v174, v188                             // 000000012734: 177979AE
	s_waitcnt lgkmcnt(3)                                       // 000000012738: BF8CC37F
	v_max3_f32 v189, v175, v176, v189                          // 00000001273C: D1D300BD 06F761AF
	v_max_f32_e32 v189, v177, v189                             // 000000012744: 177B7BB1
	s_waitcnt lgkmcnt(0)                                       // 000000012748: BF8CC07F
	v_max3_f32 v190, v178, v179, v190                          // 00000001274C: D1D300BE 06FB67B2
	v_max_f32_e32 v190, v180, v190                             // 000000012754: 177D7DB4
	ds_write_b128 v246, v[188:191]                             // 000000012758: D9BE0000 0000BCF6
	s_waitcnt lgkmcnt(0)                                       // 000000012760: BF8CC07F
	s_barrier                                                  // 000000012764: BF8A0000
	ds_read_b128 v[172:175], v247                              // 000000012768: D9FE0000 AC0000F7
	ds_read_b128 v[176:179], v247 offset:256                   // 000000012770: D9FE0100 B00000F7
	ds_read_b128 v[180:183], v247 offset:512                   // 000000012778: D9FE0200 B40000F7
	ds_read_b128 v[184:187], v247 offset:768                   // 000000012780: D9FE0300 B80000F7
	v_pk_mul_f32 v[100:101], v[158:159], v[100:101]            // 000000012788: D3B14064 1802C99E
	v_pk_mul_f32 v[102:103], v[158:159], v[102:103]            // 000000012790: D3B14066 1802CD9E
	v_pk_mul_f32 v[104:105], v[158:159], v[104:105]            // 000000012798: D3B14068 1802D19E
	v_pk_mul_f32 v[106:107], v[158:159], v[106:107]            // 0000000127A0: D3B1406A 1802D59E
	v_pk_mul_f32 v[108:109], v[160:161], v[108:109]            // 0000000127A8: D3B1406C 1802D9A0
	v_pk_mul_f32 v[110:111], v[160:161], v[110:111]            // 0000000127B0: D3B1406E 1802DDA0
	v_pk_mul_f32 v[112:113], v[160:161], v[112:113]            // 0000000127B8: D3B14070 1802E1A0
	v_pk_mul_f32 v[114:115], v[160:161], v[114:115]            // 0000000127C0: D3B14072 1802E5A0
	v_pk_mul_f32 v[116:117], v[162:163], v[116:117]            // 0000000127C8: D3B14074 1802E9A2
	v_pk_mul_f32 v[118:119], v[162:163], v[118:119]            // 0000000127D0: D3B14076 1802EDA2
	v_pk_mul_f32 v[120:121], v[162:163], v[120:121]            // 0000000127D8: D3B14078 1802F1A2
	v_pk_mul_f32 v[122:123], v[162:163], v[122:123]            // 0000000127E0: D3B1407A 1802F5A2
	s_waitcnt lgkmcnt(0)                                       // 0000000127E8: BF8CC07F
	v_max3_f32 v188, v172, v176, v188                          // 0000000127EC: D1D300BC 06F361AC
	v_max3_f32 v189, v173, v177, v189                          // 0000000127F4: D1D300BD 06F763AD
	v_max3_f32 v190, v174, v178, v190                          // 0000000127FC: D1D300BE 06FB65AE
	v_max3_f32 v188, v180, v184, v188                          // 000000012804: D1D300BC 06F371B4
	v_max3_f32 v189, v181, v185, v189                          // 00000001280C: D1D300BD 06F773B5
	v_max3_f32 v190, v182, v186, v190                          // 000000012814: D1D300BE 06FB75B6
	v_max_f32_e32 v197, v188, v194                             // 00000001281C: 178B85BC
	v_mul_f32_e64 v168, -s51, v197                             // 000000012820: D10500A8 20038A33
	v_mov_b32_e32 v169, v168                                   // 000000012828: 7F5203A8
	v_pk_fma_f32 v[4:5], v[4:5], s[86:87], v[168:169]          // 00000001282C: D3B04004 1EA0AD04
	v_pk_fma_f32 v[6:7], v[6:7], s[86:87], v[168:169]          // 000000012834: D3B04006 1EA0AD06
	v_exp_f32_e32 v4, v4                                       // 00000001283C: 7E084104
	v_exp_f32_e32 v5, v5                                       // 000000012840: 7E0A4105
	v_exp_f32_e32 v6, v6                                       // 000000012844: 7E0C4106
	v_exp_f32_e32 v7, v7                                       // 000000012848: 7E0E4107
	v_pk_fma_f32 v[8:9], v[8:9], s[86:87], v[168:169]          // 00000001284C: D3B04008 1EA0AD08
	v_pk_fma_f32 v[10:11], v[10:11], s[86:87], v[168:169]      // 000000012854: D3B0400A 1EA0AD0A
	v_exp_f32_e32 v8, v8                                       // 00000001285C: 7E104108
	v_exp_f32_e32 v9, v9                                       // 000000012860: 7E124109
	v_exp_f32_e32 v10, v10                                     // 000000012864: 7E14410A
	v_exp_f32_e32 v11, v11                                     // 000000012868: 7E16410B
	v_pk_fma_f32 v[12:13], v[12:13], s[86:87], v[168:169]      // 00000001286C: D3B0400C 1EA0AD0C
	v_pk_fma_f32 v[14:15], v[14:15], s[86:87], v[168:169]      // 000000012874: D3B0400E 1EA0AD0E
	v_exp_f32_e32 v12, v12                                     // 00000001287C: 7E18410C
	v_exp_f32_e32 v13, v13                                     // 000000012880: 7E1A410D
	v_exp_f32_e32 v14, v14                                     // 000000012884: 7E1C410E
	v_exp_f32_e32 v15, v15                                     // 000000012888: 7E1E410F
	v_pk_fma_f32 v[16:17], v[16:17], s[86:87], v[168:169]      // 00000001288C: D3B04010 1EA0AD10
	v_pk_fma_f32 v[18:19], v[18:19], s[86:87], v[168:169]      // 000000012894: D3B04012 1EA0AD12
	v_exp_f32_e32 v16, v16                                     // 00000001289C: 7E204110
	v_exp_f32_e32 v17, v17                                     // 0000000128A0: 7E224111
	v_exp_f32_e32 v18, v18                                     // 0000000128A4: 7E244112
	v_exp_f32_e32 v19, v19                                     // 0000000128A8: 7E264113
	v_max_f32_e32 v198, v189, v195                             // 0000000128AC: 178D87BD
	v_mul_f32_e64 v168, -s51, v198                             // 0000000128B0: D10500A8 20038C33
	v_mov_b32_e32 v169, v168                                   // 0000000128B8: 7F5203A8
	v_pk_fma_f32 v[20:21], v[20:21], s[86:87], v[168:169]      // 0000000128BC: D3B04014 1EA0AD14
	v_pk_fma_f32 v[22:23], v[22:23], s[86:87], v[168:169]      // 0000000128C4: D3B04016 1EA0AD16
	v_exp_f32_e32 v20, v20                                     // 0000000128CC: 7E284114
	v_exp_f32_e32 v21, v21                                     // 0000000128D0: 7E2A4115
	v_exp_f32_e32 v22, v22                                     // 0000000128D4: 7E2C4116
	v_exp_f32_e32 v23, v23                                     // 0000000128D8: 7E2E4117
	v_pk_fma_f32 v[24:25], v[24:25], s[86:87], v[168:169]      // 0000000128DC: D3B04018 1EA0AD18
	v_pk_fma_f32 v[26:27], v[26:27], s[86:87], v[168:169]      // 0000000128E4: D3B0401A 1EA0AD1A
	v_exp_f32_e32 v24, v24                                     // 0000000128EC: 7E304118
	v_exp_f32_e32 v25, v25                                     // 0000000128F0: 7E324119
	v_exp_f32_e32 v26, v26                                     // 0000000128F4: 7E34411A
	v_exp_f32_e32 v27, v27                                     // 0000000128F8: 7E36411B
	v_pk_fma_f32 v[28:29], v[28:29], s[86:87], v[168:169]      // 0000000128FC: D3B0401C 1EA0AD1C
	v_pk_fma_f32 v[30:31], v[30:31], s[86:87], v[168:169]      // 000000012904: D3B0401E 1EA0AD1E
	v_exp_f32_e32 v28, v28                                     // 00000001290C: 7E38411C
	v_exp_f32_e32 v29, v29                                     // 000000012910: 7E3A411D
	v_exp_f32_e32 v30, v30                                     // 000000012914: 7E3C411E
	v_exp_f32_e32 v31, v31                                     // 000000012918: 7E3E411F
	v_pk_fma_f32 v[32:33], v[32:33], s[86:87], v[168:169]      // 00000001291C: D3B04020 1EA0AD20
	v_pk_fma_f32 v[34:35], v[34:35], s[86:87], v[168:169]      // 000000012924: D3B04022 1EA0AD22
	v_exp_f32_e32 v32, v32                                     // 00000001292C: 7E404120
	v_exp_f32_e32 v33, v33                                     // 000000012930: 7E424121
	v_exp_f32_e32 v34, v34                                     // 000000012934: 7E444122
	v_exp_f32_e32 v35, v35                                     // 000000012938: 7E464123
	v_max_f32_e32 v199, v190, v196                             // 00000001293C: 178F89BE
	v_mul_f32_e64 v168, -s51, v199                             // 000000012940: D10500A8 20038E33
	v_mov_b32_e32 v169, v168                                   // 000000012948: 7F5203A8
	v_pk_fma_f32 v[36:37], v[36:37], s[86:87], v[168:169]      // 00000001294C: D3B04024 1EA0AD24
	v_pk_fma_f32 v[38:39], v[38:39], s[86:87], v[168:169]      // 000000012954: D3B04026 1EA0AD26
	v_exp_f32_e32 v36, v36                                     // 00000001295C: 7E484124
	v_exp_f32_e32 v37, v37                                     // 000000012960: 7E4A4125
	v_exp_f32_e32 v38, v38                                     // 000000012964: 7E4C4126
	v_exp_f32_e32 v39, v39                                     // 000000012968: 7E4E4127
	v_pk_fma_f32 v[40:41], v[40:41], s[86:87], v[168:169]      // 00000001296C: D3B04028 1EA0AD28
	v_pk_fma_f32 v[42:43], v[42:43], s[86:87], v[168:169]      // 000000012974: D3B0402A 1EA0AD2A
	v_exp_f32_e32 v40, v40                                     // 00000001297C: 7E504128
	v_exp_f32_e32 v41, v41                                     // 000000012980: 7E524129
	v_exp_f32_e32 v42, v42                                     // 000000012984: 7E54412A
	v_exp_f32_e32 v43, v43                                     // 000000012988: 7E56412B
	v_mul_f32_dpp v52, v157, v4 row_newbcast:0 row_mask:0xf bank_mask:0xf// 00000001298C: 0A6808FA FF01509D
	v_mul_f32_dpp v53, v157, v5 row_newbcast:1 row_mask:0xf bank_mask:0xf// 000000012994: 0A6A0AFA FF01519D
	v_mul_f32_dpp v54, v157, v6 row_newbcast:2 row_mask:0xf bank_mask:0xf// 00000001299C: 0A6C0CFA FF01529D
	v_mul_f32_dpp v55, v157, v7 row_newbcast:3 row_mask:0xf bank_mask:0xf// 0000000129A4: 0A6E0EFA FF01539D
	v_mul_f32_dpp v56, v157, v8 row_newbcast:4 row_mask:0xf bank_mask:0xf// 0000000129AC: 0A7010FA FF01549D
	v_mul_f32_dpp v57, v157, v9 row_newbcast:5 row_mask:0xf bank_mask:0xf// 0000000129B4: 0A7212FA FF01559D
	v_mul_f32_dpp v58, v157, v10 row_newbcast:6 row_mask:0xf bank_mask:0xf// 0000000129BC: 0A7414FA FF01569D
	v_mul_f32_dpp v59, v157, v11 row_newbcast:7 row_mask:0xf bank_mask:0xf// 0000000129C4: 0A7616FA FF01579D
	v_mul_f32_dpp v60, v157, v12 row_newbcast:8 row_mask:0xf bank_mask:0xf// 0000000129CC: 0A7818FA FF01589D
	v_mul_f32_dpp v61, v157, v13 row_newbcast:9 row_mask:0xf bank_mask:0xf// 0000000129D4: 0A7A1AFA FF01599D
	v_mul_f32_dpp v62, v157, v14 row_newbcast:10 row_mask:0xf bank_mask:0xf// 0000000129DC: 0A7C1CFA FF015A9D
	v_mul_f32_dpp v63, v157, v15 row_newbcast:11 row_mask:0xf bank_mask:0xf// 0000000129E4: 0A7E1EFA FF015B9D
	v_mul_f32_dpp v64, v157, v16 row_newbcast:12 row_mask:0xf bank_mask:0xf// 0000000129EC: 0A8020FA FF015C9D
	v_mul_f32_dpp v65, v157, v17 row_newbcast:13 row_mask:0xf bank_mask:0xf// 0000000129F4: 0A8222FA FF015D9D
	v_mul_f32_dpp v66, v157, v18 row_newbcast:14 row_mask:0xf bank_mask:0xf// 0000000129FC: 0A8424FA FF015E9D
	v_mul_f32_dpp v67, v157, v19 row_newbcast:15 row_mask:0xf bank_mask:0xf// 000000012A04: 0A8626FA FF015F9D
	v_mul_f32_dpp v68, v157, v20 row_newbcast:0 row_mask:0xf bank_mask:0xf// 000000012A0C: 0A8828FA FF01509D
	v_mul_f32_dpp v69, v157, v21 row_newbcast:1 row_mask:0xf bank_mask:0xf// 000000012A14: 0A8A2AFA FF01519D
	v_mul_f32_dpp v70, v157, v22 row_newbcast:2 row_mask:0xf bank_mask:0xf// 000000012A1C: 0A8C2CFA FF01529D
	v_mul_f32_dpp v71, v157, v23 row_newbcast:3 row_mask:0xf bank_mask:0xf// 000000012A24: 0A8E2EFA FF01539D
	v_mul_f32_dpp v72, v157, v24 row_newbcast:4 row_mask:0xf bank_mask:0xf// 000000012A2C: 0A9030FA FF01549D
	v_mul_f32_dpp v73, v157, v25 row_newbcast:5 row_mask:0xf bank_mask:0xf// 000000012A34: 0A9232FA FF01559D
	v_mul_f32_dpp v74, v157, v26 row_newbcast:6 row_mask:0xf bank_mask:0xf// 000000012A3C: 0A9434FA FF01569D
	v_mul_f32_dpp v75, v157, v27 row_newbcast:7 row_mask:0xf bank_mask:0xf// 000000012A44: 0A9636FA FF01579D
	v_mul_f32_dpp v76, v157, v28 row_newbcast:8 row_mask:0xf bank_mask:0xf// 000000012A4C: 0A9838FA FF01589D
	v_mul_f32_dpp v77, v157, v29 row_newbcast:9 row_mask:0xf bank_mask:0xf// 000000012A54: 0A9A3AFA FF01599D
	v_mul_f32_dpp v78, v157, v30 row_newbcast:10 row_mask:0xf bank_mask:0xf// 000000012A5C: 0A9C3CFA FF015A9D
	v_mul_f32_dpp v79, v157, v31 row_newbcast:11 row_mask:0xf bank_mask:0xf// 000000012A64: 0A9E3EFA FF015B9D
	v_mul_f32_dpp v80, v157, v32 row_newbcast:12 row_mask:0xf bank_mask:0xf// 000000012A6C: 0AA040FA FF015C9D
	v_mul_f32_dpp v81, v157, v33 row_newbcast:13 row_mask:0xf bank_mask:0xf// 000000012A74: 0AA242FA FF015D9D
	v_mul_f32_dpp v82, v157, v34 row_newbcast:14 row_mask:0xf bank_mask:0xf// 000000012A7C: 0AA444FA FF015E9D
	v_mul_f32_dpp v83, v157, v35 row_newbcast:15 row_mask:0xf bank_mask:0xf// 000000012A84: 0AA646FA FF015F9D
	v_mul_f32_dpp v84, v166, v36 quad_perm:[0,0,0,0] row_mask:0xf bank_mask:0xf// 000000012A8C: 0AA848FA FF0000A6
	v_mul_f32_dpp v85, v166, v37 quad_perm:[1,1,1,1] row_mask:0xf bank_mask:0xf// 000000012A94: 0AAA4AFA FF0055A6
	v_mul_f32_dpp v86, v166, v38 quad_perm:[2,2,2,2] row_mask:0xf bank_mask:0xf// 000000012A9C: 0AAC4CFA FF00AAA6
	v_mul_f32_dpp v87, v166, v39 quad_perm:[3,3,3,3] row_mask:0xf bank_mask:0xf// 000000012AA4: 0AAE4EFA FF00FFA6
	v_mul_f32_dpp v88, v167, v40 quad_perm:[0,0,0,0] row_mask:0xf bank_mask:0xf// 000000012AAC: 0AB050FA FF0000A7
	v_mul_f32_dpp v89, v167, v41 quad_perm:[1,1,1,1] row_mask:0xf bank_mask:0xf// 000000012AB4: 0AB252FA FF0055A7
	v_mul_f32_dpp v90, v167, v42 quad_perm:[2,2,2,2] row_mask:0xf bank_mask:0xf// 000000012ABC: 0AB454FA FF00AAA7
	v_mul_f32_dpp v91, v167, v43 quad_perm:[3,3,3,3] row_mask:0xf bank_mask:0xf// 000000012AC4: 0AB656FA FF00FFA7
	v_mov_b32_e32 v190, 0x358637bd                             // 000000012ACC: 7F7C02FF 358637BD
	v_max3_f32 v190, |v84|, |v85|, v190                        // 000000012AD4: D1D303BE 06FAAB54
	v_max3_f32 v190, |v86|, |v87|, v190                        // 000000012ADC: D1D303BE 06FAAF56
	v_max3_f32 v190, |v88|, |v89|, v190                        // 000000012AE4: D1D303BE 06FAB358
	v_max3_f32 v190, |v90|, |v91|, v190                        // 000000012AEC: D1D303BE 06FAB75A
	v_mov_b32_e32 v189, 0x358637bd                             // 000000012AF4: 7F7A02FF 358637BD
	v_max3_f32 v189, |v68|, |v69|, v189                        // 000000012AFC: D1D303BD 06F68B44
	v_max3_f32 v189, |v70|, |v71|, v189                        // 000000012B04: D1D303BD 06F68F46
	v_max3_f32 v189, |v72|, |v73|, v189                        // 000000012B0C: D1D303BD 06F69348
	v_max3_f32 v189, |v74|, |v75|, v189                        // 000000012B14: D1D303BD 06F6974A
	v_max3_f32 v189, |v76|, |v77|, v189                        // 000000012B1C: D1D303BD 06F69B4C
	v_max3_f32 v189, |v78|, |v79|, v189                        // 000000012B24: D1D303BD 06F69F4E
	v_max3_f32 v189, |v80|, |v81|, v189                        // 000000012B2C: D1D303BD 06F6A350
	v_max3_f32 v189, |v82|, |v83|, v189                        // 000000012B34: D1D303BD 06F6A752
	v_mov_b32_e32 v188, 0x358637bd                             // 000000012B3C: 7F7802FF 358637BD
	v_max3_f32 v188, |v52|, |v53|, v188                        // 000000012B44: D1D303BC 06F26B34
	v_max3_f32 v188, |v54|, |v55|, v188                        // 000000012B4C: D1D303BC 06F26F36
	v_max3_f32 v188, |v56|, |v57|, v188                        // 000000012B54: D1D303BC 06F27338
	v_max3_f32 v188, |v58|, |v59|, v188                        // 000000012B5C: D1D303BC 06F2773A
	v_max3_f32 v188, |v60|, |v61|, v188                        // 000000012B64: D1D303BC 06F27B3C
	v_max3_f32 v188, |v62|, |v63|, v188                        // 000000012B6C: D1D303BC 06F27F3E
	v_max3_f32 v188, |v64|, |v65|, v188                        // 000000012B74: D1D303BC 06F28340
	v_max3_f32 v188, |v66|, |v67|, v188                        // 000000012B7C: D1D303BC 06F28742
	v_max_f32_dpp v190, v190, v190 row_ror:8 row_mask:0xf bank_mask:0xf// 000000012B84: 177D7CFA FF0128BE
	ds_bpermute_b32 v172, v212, v188                           // 000000012B8C: D87E0000 AC00BCD4
	ds_bpermute_b32 v173, v213, v188                           // 000000012B94: D87E0000 AD00BCD5
	ds_bpermute_b32 v174, v214, v188                           // 000000012B9C: D87E0000 AE00BCD6
	ds_bpermute_b32 v175, v212, v189                           // 000000012BA4: D87E0000 AF00BDD4
	ds_bpermute_b32 v176, v213, v189                           // 000000012BAC: D87E0000 B000BDD5
	ds_bpermute_b32 v177, v214, v189                           // 000000012BB4: D87E0000 B100BDD6
	ds_bpermute_b32 v178, v212, v190                           // 000000012BBC: D87E0000 B200BED4
	ds_bpermute_b32 v179, v213, v190                           // 000000012BC4: D87E0000 B300BED5
	ds_bpermute_b32 v180, v214, v190                           // 000000012BCC: D87E0000 B400BED6
	s_waitcnt lgkmcnt(6)                                       // 000000012BD4: BF8CC67F
	v_max3_f32 v188, v172, v173, v188                          // 000000012BD8: D1D300BC 06F35BAC
	v_max_f32_e32 v188, v174, v188                             // 000000012BE0: 177979AE
	s_waitcnt lgkmcnt(3)                                       // 000000012BE4: BF8CC37F
	v_max3_f32 v189, v175, v176, v189                          // 000000012BE8: D1D300BD 06F761AF
	v_max_f32_e32 v189, v177, v189                             // 000000012BF0: 177B7BB1
	s_waitcnt lgkmcnt(0)                                       // 000000012BF4: BF8CC07F
	v_max3_f32 v190, v178, v179, v190                          // 000000012BF8: D1D300BE 06FB67B2
	v_max_f32_e32 v190, v180, v190                             // 000000012C00: 177D7DB4
	ds_write_b128 v246, v[188:191] offset:4096                 // 000000012C04: D9BE1000 0000BCF6
	v_sub_f32_e32 v200, v194, v197                             // 000000012C0C: 05918BC2
	v_cmp_eq_u32_e64 s[84:85], v225, v194                      // 000000012C10: D0CA0054 000385E1
	v_cndmask_b32_e64 v200, v200, 0, s[84:85]                  // 000000012C18: D10000C8 015101C8
	v_mov_b32_e32 v194, v197                                   // 000000012C20: 7F8403C5
	v_mul_f32_e32 v200, s51, v200                              // 000000012C24: 0B919033
	v_exp_f32_e32 v200, v200                                   // 000000012C28: 7F9041C8
	v_sub_f32_e32 v202, v195, v198                             // 000000012C2C: 05958DC3
	v_cmp_eq_u32_e64 s[84:85], v225, v195                      // 000000012C30: D0CA0054 000387E1
	v_cndmask_b32_e64 v202, v202, 0, s[84:85]                  // 000000012C38: D10000CA 015101CA
	v_mov_b32_e32 v195, v198                                   // 000000012C40: 7F8603C6
	v_mul_f32_e32 v202, s51, v202                              // 000000012C44: 0B959433
	v_exp_f32_e32 v202, v202                                   // 000000012C48: 7F9441CA
	v_sub_f32_e32 v204, v196, v199                             // 000000012C4C: 05998FC4
	v_cmp_eq_u32_e64 s[84:85], v225, v196                      // 000000012C50: D0CA0054 000389E1
	v_cndmask_b32_e64 v204, v204, 0, s[84:85]                  // 000000012C58: D10000CC 015101CC
	v_mov_b32_e32 v196, v199                                   // 000000012C60: 7F8803C7
	v_mul_f32_e32 v204, s51, v204                              // 000000012C64: 0B999833
	v_exp_f32_e32 v204, v204                                   // 000000012C68: 7F9841CC
	v_mov_b32_e32 v201, v200                                   // 000000012C6C: 7F9203C8
	v_mov_b32_e32 v203, v202                                   // 000000012C70: 7F9603CA
	v_mov_b32_e32 v205, v204                                   // 000000012C74: 7F9A03CC
	s_waitcnt lgkmcnt(0)                                       // 000000012C78: BF8CC07F
	s_barrier                                                  // 000000012C7C: BF8A0000
	ds_read_b128 v[172:175], v247 offset:4096                  // 000000012C80: D9FE1000 AC0000F7
	ds_read_b128 v[176:179], v247 offset:4352                  // 000000012C88: D9FE1100 B00000F7
	ds_read_b128 v[180:183], v247 offset:4608                  // 000000012C90: D9FE1200 B40000F7
	ds_read_b128 v[184:187], v247 offset:4864                  // 000000012C98: D9FE1300 B80000F7
	v_mul_f32_e32 v206, v200, v206                             // 000000012CA0: 0B9D9DC8
	v_mov_b32_e32 v207, 0                                      // 000000012CA4: 7F9E0280
	v_pk_add_f32 v[206:207], v[4:5], v[206:207]                // 000000012CA8: D3B240CE 18039D04
	v_pk_add_f32 v[206:207], v[6:7], v[206:207]                // 000000012CB0: D3B240CE 18039D06
	v_pk_add_f32 v[206:207], v[8:9], v[206:207]                // 000000012CB8: D3B240CE 18039D08
	v_pk_add_f32 v[206:207], v[10:11], v[206:207]              // 000000012CC0: D3B240CE 18039D0A
	v_pk_add_f32 v[206:207], v[12:13], v[206:207]              // 000000012CC8: D3B240CE 18039D0C
	v_pk_add_f32 v[206:207], v[14:15], v[206:207]              // 000000012CD0: D3B240CE 18039D0E
	v_pk_add_f32 v[206:207], v[16:17], v[206:207]              // 000000012CD8: D3B240CE 18039D10
	v_pk_add_f32 v[206:207], v[18:19], v[206:207]              // 000000012CE0: D3B240CE 18039D12
	v_add_f32_e32 v206, v207, v206                             // 000000012CE8: 039D9DCF
	v_mul_f32_e32 v208, v202, v208                             // 000000012CEC: 0BA1A1CA
	v_mov_b32_e32 v209, 0                                      // 000000012CF0: 7FA20280
	v_pk_add_f32 v[208:209], v[20:21], v[208:209]              // 000000012CF4: D3B240D0 1803A114
	v_pk_add_f32 v[208:209], v[22:23], v[208:209]              // 000000012CFC: D3B240D0 1803A116
	v_pk_add_f32 v[208:209], v[24:25], v[208:209]              // 000000012D04: D3B240D0 1803A118
	v_pk_add_f32 v[208:209], v[26:27], v[208:209]              // 000000012D0C: D3B240D0 1803A11A
	v_pk_add_f32 v[208:209], v[28:29], v[208:209]              // 000000012D14: D3B240D0 1803A11C
	v_pk_add_f32 v[208:209], v[30:31], v[208:209]              // 000000012D1C: D3B240D0 1803A11E
	v_pk_add_f32 v[208:209], v[32:33], v[208:209]              // 000000012D24: D3B240D0 1803A120
	v_pk_add_f32 v[208:209], v[34:35], v[208:209]              // 000000012D2C: D3B240D0 1803A122
	v_add_f32_e32 v208, v209, v208                             // 000000012D34: 03A1A1D1
	v_mul_f32_e32 v210, v204, v210                             // 000000012D38: 0BA5A5CC
	v_mov_b32_e32 v211, 0                                      // 000000012D3C: 7FA60280
	v_pk_add_f32 v[210:211], v[36:37], v[210:211]              // 000000012D40: D3B240D2 1803A524
	v_pk_add_f32 v[210:211], v[38:39], v[210:211]              // 000000012D48: D3B240D2 1803A526
	v_pk_add_f32 v[210:211], v[40:41], v[210:211]              // 000000012D50: D3B240D2 1803A528
	v_pk_add_f32 v[210:211], v[42:43], v[210:211]              // 000000012D58: D3B240D2 1803A52A
	v_add_f32_e32 v210, v211, v210                             // 000000012D60: 03A5A5D3
	s_waitcnt lgkmcnt(0)                                       // 000000012D64: BF8CC07F
	v_max3_f32 v188, v172, v176, v188                          // 000000012D68: D1D300BC 06F361AC
	v_max3_f32 v189, v173, v177, v189                          // 000000012D70: D1D300BD 06F763AD
	v_max3_f32 v190, v174, v178, v190                          // 000000012D78: D1D300BE 06FB65AE
	v_max3_f32 v188, v180, v184, v188                          // 000000012D80: D1D300BC 06F371B4
	v_max3_f32 v189, v181, v185, v189                          // 000000012D88: D1D300BD 06F773B5
	v_max3_f32 v190, v182, v186, v190                          // 000000012D90: D1D300BE 06FB75B6
	v_rcp_f32_e32 v188, v188                                   // 000000012D98: 7F7845BC
	v_rcp_f32_e32 v189, v189                                   // 000000012D9C: 7F7A45BD
	v_rcp_f32_e32 v190, v190                                   // 000000012DA0: 7F7C45BE
	v_mul_f32_e32 v188, 0x43700000, v188                       // 000000012DA4: 0B7978FF 43700000
	v_mul_f32_e32 v189, 0x43700000, v189                       // 000000012DAC: 0B7B7AFF 43700000
	v_mul_f32_e32 v190, 0x43700000, v190                       // 000000012DB4: 0B7D7CFF 43700000
	v_mov_b32_e32 v192, v190                                   // 000000012DBC: 7F8003BE
	v_mov_b32_e32 v193, v190                                   // 000000012DC0: 7F8203BE
	v_mov_b32_e32 v190, v189                                   // 000000012DC4: 7F7C03BD
	v_mov_b32_e32 v191, v189                                   // 000000012DC8: 7F7E03BD
	v_mov_b32_e32 v189, v188                                   // 000000012DCC: 7F7A03BC
	v_pk_mul_f32 v[4:5], v[188:189], v[52:53]                  // 000000012DD0: D3B14004 180269BC
	v_pk_mul_f32 v[6:7], v[188:189], v[54:55]                  // 000000012DD8: D3B14006 18026DBC
	v_pk_mul_f32 v[8:9], v[188:189], v[56:57]                  // 000000012DE0: D3B14008 180271BC
	v_pk_mul_f32 v[10:11], v[188:189], v[58:59]                // 000000012DE8: D3B1400A 180275BC
	v_pk_mul_f32 v[12:13], v[188:189], v[60:61]                // 000000012DF0: D3B1400C 180279BC
	v_pk_mul_f32 v[14:15], v[188:189], v[62:63]                // 000000012DF8: D3B1400E 18027DBC
	v_pk_mul_f32 v[16:17], v[188:189], v[64:65]                // 000000012E00: D3B14010 180281BC
	v_pk_mul_f32 v[18:19], v[188:189], v[66:67]                // 000000012E08: D3B14012 180285BC
	v_pk_mul_f32 v[20:21], v[190:191], v[68:69]                // 000000012E10: D3B14014 180289BE
	v_pk_mul_f32 v[22:23], v[190:191], v[70:71]                // 000000012E18: D3B14016 18028DBE
	v_pk_mul_f32 v[24:25], v[190:191], v[72:73]                // 000000012E20: D3B14018 180291BE
	v_pk_mul_f32 v[26:27], v[190:191], v[74:75]                // 000000012E28: D3B1401A 180295BE
	v_pk_mul_f32 v[28:29], v[190:191], v[76:77]                // 000000012E30: D3B1401C 180299BE
	v_pk_mul_f32 v[30:31], v[190:191], v[78:79]                // 000000012E38: D3B1401E 18029DBE
	v_pk_mul_f32 v[32:33], v[190:191], v[80:81]                // 000000012E40: D3B14020 1802A1BE
	v_pk_mul_f32 v[34:35], v[190:191], v[82:83]                // 000000012E48: D3B14022 1802A5BE
	v_pk_mul_f32 v[36:37], v[192:193], v[84:85]                // 000000012E50: D3B14024 1802A9C0
	v_pk_mul_f32 v[38:39], v[192:193], v[86:87]                // 000000012E58: D3B14026 1802ADC0
	v_pk_mul_f32 v[40:41], v[192:193], v[88:89]                // 000000012E60: D3B14028 1802B1C0
	v_pk_mul_f32 v[42:43], v[192:193], v[90:91]                // 000000012E68: D3B1402A 1802B5C0
	v_cvt_pk_fp8_f32 v4, v4, v5                                // 000000012E70: D2A20004 00020B04
	v_cvt_pk_fp8_f32 v4, v6, v7 op_sel:[0,0,1]                 // 000000012E78: D2A24004 00020F06
	v_cvt_pk_fp8_f32 v5, v8, v9                                // 000000012E80: D2A20005 00021308
	v_cvt_pk_fp8_f32 v5, v10, v11 op_sel:[0,0,1]               // 000000012E88: D2A24005 0002170A
	v_cvt_pk_fp8_f32 v6, v12, v13                              // 000000012E90: D2A20006 00021B0C
	v_cvt_pk_fp8_f32 v6, v14, v15 op_sel:[0,0,1]               // 000000012E98: D2A24006 00021F0E
	v_cvt_pk_fp8_f32 v7, v16, v17                              // 000000012EA0: D2A20007 00022310
	v_cvt_pk_fp8_f32 v7, v18, v19 op_sel:[0,0,1]               // 000000012EA8: D2A24007 00022712
	v_cvt_pk_fp8_f32 v8, v20, v21                              // 000000012EB0: D2A20008 00022B14
	v_cvt_pk_fp8_f32 v8, v22, v23 op_sel:[0,0,1]               // 000000012EB8: D2A24008 00022F16
	v_cvt_pk_fp8_f32 v9, v24, v25                              // 000000012EC0: D2A20009 00023318
	v_cvt_pk_fp8_f32 v9, v26, v27 op_sel:[0,0,1]               // 000000012EC8: D2A24009 0002371A
	v_cvt_pk_fp8_f32 v10, v28, v29                             // 000000012ED0: D2A2000A 00023B1C
	v_cvt_pk_fp8_f32 v10, v30, v31 op_sel:[0,0,1]              // 000000012ED8: D2A2400A 00023F1E
	v_cvt_pk_fp8_f32 v11, v32, v33                             // 000000012EE0: D2A2000B 00024320
	v_cvt_pk_fp8_f32 v11, v34, v35 op_sel:[0,0,1]              // 000000012EE8: D2A2400B 00024722
	v_cvt_pk_fp8_f32 v12, v36, v37                             // 000000012EF0: D2A2000C 00024B24
	v_cvt_pk_fp8_f32 v12, v38, v39 op_sel:[0,0,1]              // 000000012EF8: D2A2400C 00024F26
	v_cvt_pk_fp8_f32 v13, v40, v41                             // 000000012F00: D2A2000D 00025328
	v_cvt_pk_fp8_f32 v13, v42, v43 op_sel:[0,0,1]              // 000000012F08: D2A2400D 0002572A
	v_mov_b32_dpp v14, v12 row_shl:8 row_mask:0xf bank_mask:0xf bound_ctrl:1// 000000012F10: 7E1C02FA FF09080C
	v_and_b32_e32 v12, v12, v224                               // 000000012F18: 2619C10C
	v_mov_b32_dpp v15, v13 row_shl:8 row_mask:0xf bank_mask:0xf bound_ctrl:1// 000000012F1C: 7E1E02FA FF09080D
	v_and_b32_e32 v13, v13, v224                               // 000000012F24: 261BC10D
	ds_write_b32 v248, v4 offset:8192                          // 000000012F28: D81A2000 000004F8
	ds_write_b32 v248, v5 offset:9216                          // 000000012F30: D81A2400 000005F8
	ds_write_b32 v248, v6 offset:10240                         // 000000012F38: D81A2800 000006F8
	ds_write_b32 v248, v7 offset:11264                         // 000000012F40: D81A2C00 000007F8
	ds_write_b32 v248, v8 offset:12288                         // 000000012F48: D81A3000 000008F8
	ds_write_b32 v248, v9 offset:13312                         // 000000012F50: D81A3400 000009F8
	ds_write_b32 v248, v10 offset:14336                        // 000000012F58: D81A3800 00000AF8
	ds_write_b32 v248, v11 offset:15360                        // 000000012F60: D81A3C00 00000BF8
	ds_write_b32 v248, v12 offset:16384                        // 000000012F68: D81A4000 00000CF8
	ds_write_b32 v248, v13 offset:17408                        // 000000012F70: D81A4400 00000DF8
	ds_write_b32 v248, v14 offset:18432                        // 000000012F78: D81A4800 00000EF8
	ds_write_b32 v248, v15 offset:19456                        // 000000012F80: D81A4C00 00000FF8
	v_rcp_f32_e32 v158, v188                                   // 000000012F88: 7F3C45BC
	v_rcp_f32_e32 v160, v190                                   // 000000012F8C: 7F4045BE
	v_rcp_f32_e32 v162, v192                                   // 000000012F90: 7F4445C0
	v_mov_b32_e32 v159, v158                                   // 000000012F94: 7F3E039E
	v_mov_b32_e32 v161, v160                                   // 000000012F98: 7F4203A0
	v_mov_b32_e32 v163, v162                                   // 000000012F9C: 7F4603A2
	v_pk_add_f32 v[124:125], v[124:125], v[100:101]            // 000000012FA0: D3B2407C 1802C97C
	v_pk_add_f32 v[126:127], v[126:127], v[102:103]            // 000000012FA8: D3B2407E 1802CD7E
	v_pk_add_f32 v[128:129], v[128:129], v[104:105]            // 000000012FB0: D3B24080 1802D180
	v_pk_add_f32 v[130:131], v[130:131], v[106:107]            // 000000012FB8: D3B24082 1802D582
	v_pk_add_f32 v[132:133], v[132:133], v[108:109]            // 000000012FC0: D3B24084 1802D984
	v_pk_add_f32 v[134:135], v[134:135], v[110:111]            // 000000012FC8: D3B24086 1802DD86
	v_pk_add_f32 v[136:137], v[136:137], v[112:113]            // 000000012FD0: D3B24088 1802E188
	v_pk_add_f32 v[138:139], v[138:139], v[114:115]            // 000000012FD8: D3B2408A 1802E58A
	v_pk_add_f32 v[140:141], v[140:141], v[116:117]            // 000000012FE0: D3B2408C 1802E98C
	v_pk_add_f32 v[142:143], v[142:143], v[118:119]            // 000000012FE8: D3B2408E 1802ED8E
	v_pk_add_f32 v[144:145], v[144:145], v[120:121]            // 000000012FF0: D3B24090 1802F190
	v_pk_add_f32 v[146:147], v[146:147], v[122:123]            // 000000012FF8: D3B24092 1802F592
	s_waitcnt lgkmcnt(0)                                       // 000000013000: BF8CC07F
	s_barrier                                                  // 000000013004: BF8A0000
	ds_read_b128 v[4:7], v249 offset:8192                      // 000000013008: D9FE2000 040000F9
	ds_read_b128 v[8:11], v249 offset:9216                     // 000000013010: D9FE2400 080000F9
	ds_read_b128 v[12:15], v249 offset:10240                   // 000000013018: D9FE2800 0C0000F9
	ds_read_b128 v[16:19], v249 offset:11264                   // 000000013020: D9FE2C00 100000F9
	ds_read_b128 v[20:23], v249 offset:12288                   // 000000013028: D9FE3000 140000F9
	ds_read_b128 v[24:27], v249 offset:13312                   // 000000013030: D9FE3400 180000F9
	ds_read_b128 v[28:31], v249 offset:14336                   // 000000013038: D9FE3800 1C0000F9
	ds_read_b128 v[32:35], v249 offset:15360                   // 000000013040: D9FE3C00 200000F9
	ds_read_b128 v[36:39], v249 offset:16384                   // 000000013048: D9FE4000 240000F9
	ds_read_b128 v[40:43], v249 offset:17408                   // 000000013050: D9FE4400 280000F9
	ds_read_b128 v[44:47], v249 offset:18432                   // 000000013058: D9FE4800 2C0000F9
	ds_read_b128 v[48:51], v249 offset:19456                   // 000000013060: D9FE4C00 300000F9
	s_waitcnt vmcnt(0)                                         // 000000013068: BF8C0F70
	s_waitcnt lgkmcnt(11)                                      // 00000001306C: BF8CCB7F
	v_mfma_f32_16x16x32_fp8_fp8 v[100:103], a[120:121], v[4:5], 0// 000000013070: D3F30064 0A020978
	v_mfma_f32_16x16x32_fp8_fp8 v[104:107], a[136:137], v[4:5], 0// 000000013078: D3F30068 0A020988
	v_mfma_f32_16x16x32_fp8_fp8 v[100:103], a[122:123], v[6:7], v[100:103]// 000000013080: D3F30064 0D920D7A
	v_mfma_f32_16x16x32_fp8_fp8 v[104:107], a[138:139], v[6:7], v[104:107]// 000000013088: D3F30068 0DA20D8A
	s_waitcnt lgkmcnt(10)                                      // 000000013090: BF8CCA7F
	v_mfma_f32_16x16x32_fp8_fp8 v[100:103], a[124:125], v[8:9], v[100:103]// 000000013094: D3F30064 0D92117C
	v_mfma_f32_16x16x32_fp8_fp8 v[104:107], a[140:141], v[8:9], v[104:107]// 00000001309C: D3F30068 0DA2118C
	v_mfma_f32_16x16x32_fp8_fp8 v[100:103], a[126:127], v[10:11], v[100:103]// 0000000130A4: D3F30064 0D92157E
	v_mfma_f32_16x16x32_fp8_fp8 v[104:107], a[142:143], v[10:11], v[104:107]// 0000000130AC: D3F30068 0DA2158E
	s_waitcnt lgkmcnt(9)                                       // 0000000130B4: BF8CC97F
	v_mfma_f32_16x16x32_fp8_fp8 v[100:103], a[128:129], v[12:13], v[100:103]// 0000000130B8: D3F30064 0D921980
	v_mfma_f32_16x16x32_fp8_fp8 v[104:107], a[144:145], v[12:13], v[104:107]// 0000000130C0: D3F30068 0DA21990
	v_mfma_f32_16x16x32_fp8_fp8 v[100:103], a[130:131], v[14:15], v[100:103]// 0000000130C8: D3F30064 0D921D82
	v_mfma_f32_16x16x32_fp8_fp8 v[104:107], a[146:147], v[14:15], v[104:107]// 0000000130D0: D3F30068 0DA21D92
	s_waitcnt lgkmcnt(8)                                       // 0000000130D8: BF8CC87F
	v_mfma_f32_16x16x32_fp8_fp8 v[100:103], a[132:133], v[16:17], v[100:103]// 0000000130DC: D3F30064 0D922184
	v_mfma_f32_16x16x32_fp8_fp8 v[104:107], a[148:149], v[16:17], v[104:107]// 0000000130E4: D3F30068 0DA22194
	v_mfma_f32_16x16x32_fp8_fp8 v[100:103], a[134:135], v[18:19], v[100:103]// 0000000130EC: D3F30064 0D922586
	v_mfma_f32_16x16x32_fp8_fp8 v[104:107], a[150:151], v[18:19], v[104:107]// 0000000130F4: D3F30068 0DA22596
	s_waitcnt lgkmcnt(7)                                       // 0000000130FC: BF8CC77F
	v_mfma_f32_16x16x32_fp8_fp8 v[108:111], a[120:121], v[20:21], 0// 000000013100: D3F3006C 0A022978
	v_mfma_f32_16x16x32_fp8_fp8 v[112:115], a[136:137], v[20:21], 0// 000000013108: D3F30070 0A022988
	v_mfma_f32_16x16x32_fp8_fp8 v[108:111], a[122:123], v[22:23], v[108:111]// 000000013110: D3F3006C 0DB22D7A
	v_mfma_f32_16x16x32_fp8_fp8 v[112:115], a[138:139], v[22:23], v[112:115]// 000000013118: D3F30070 0DC22D8A
	s_waitcnt lgkmcnt(6)                                       // 000000013120: BF8CC67F
	v_mfma_f32_16x16x32_fp8_fp8 v[108:111], a[124:125], v[24:25], v[108:111]// 000000013124: D3F3006C 0DB2317C
	v_mfma_f32_16x16x32_fp8_fp8 v[112:115], a[140:141], v[24:25], v[112:115]// 00000001312C: D3F30070 0DC2318C
	v_mfma_f32_16x16x32_fp8_fp8 v[108:111], a[126:127], v[26:27], v[108:111]// 000000013134: D3F3006C 0DB2357E
	v_mfma_f32_16x16x32_fp8_fp8 v[112:115], a[142:143], v[26:27], v[112:115]// 00000001313C: D3F30070 0DC2358E
	s_waitcnt lgkmcnt(5)                                       // 000000013144: BF8CC57F
	v_mfma_f32_16x16x32_fp8_fp8 v[108:111], a[128:129], v[28:29], v[108:111]// 000000013148: D3F3006C 0DB23980
	v_mfma_f32_16x16x32_fp8_fp8 v[112:115], a[144:145], v[28:29], v[112:115]// 000000013150: D3F30070 0DC23990
	v_mfma_f32_16x16x32_fp8_fp8 v[108:111], a[130:131], v[30:31], v[108:111]// 000000013158: D3F3006C 0DB23D82
	v_mfma_f32_16x16x32_fp8_fp8 v[112:115], a[146:147], v[30:31], v[112:115]// 000000013160: D3F30070 0DC23D92
	s_waitcnt lgkmcnt(4)                                       // 000000013168: BF8CC47F
	v_mfma_f32_16x16x32_fp8_fp8 v[108:111], a[132:133], v[32:33], v[108:111]// 00000001316C: D3F3006C 0DB24184
	v_mfma_f32_16x16x32_fp8_fp8 v[112:115], a[148:149], v[32:33], v[112:115]// 000000013174: D3F30070 0DC24194
	v_mfma_f32_16x16x32_fp8_fp8 v[108:111], a[134:135], v[34:35], v[108:111]// 00000001317C: D3F3006C 0DB24586
	v_mfma_f32_16x16x32_fp8_fp8 v[112:115], a[150:151], v[34:35], v[112:115]// 000000013184: D3F30070 0DC24596
	s_waitcnt lgkmcnt(3)                                       // 00000001318C: BF8CC37F
	v_mfma_f32_16x16x32_fp8_fp8 v[116:119], a[120:121], v[36:37], 0// 000000013190: D3F30074 0A024978
	v_mfma_f32_16x16x32_fp8_fp8 v[120:123], a[136:137], v[36:37], 0// 000000013198: D3F30078 0A024988
	v_mfma_f32_16x16x32_fp8_fp8 v[116:119], a[122:123], v[38:39], v[116:119]// 0000000131A0: D3F30074 0DD24D7A
	v_mfma_f32_16x16x32_fp8_fp8 v[120:123], a[138:139], v[38:39], v[120:123]// 0000000131A8: D3F30078 0DE24D8A
	s_waitcnt lgkmcnt(2)                                       // 0000000131B0: BF8CC27F
	v_mfma_f32_16x16x32_fp8_fp8 v[116:119], a[124:125], v[40:41], v[116:119]// 0000000131B4: D3F30074 0DD2517C
	v_mfma_f32_16x16x32_fp8_fp8 v[120:123], a[140:141], v[40:41], v[120:123]// 0000000131BC: D3F30078 0DE2518C
	v_mfma_f32_16x16x32_fp8_fp8 v[116:119], a[126:127], v[42:43], v[116:119]// 0000000131C4: D3F30074 0DD2557E
	v_mfma_f32_16x16x32_fp8_fp8 v[120:123], a[142:143], v[42:43], v[120:123]// 0000000131CC: D3F30078 0DE2558E
	s_waitcnt lgkmcnt(1)                                       // 0000000131D4: BF8CC17F
	v_mfma_f32_16x16x32_fp8_fp8 v[116:119], a[128:129], v[44:45], v[116:119]// 0000000131D8: D3F30074 0DD25980
	v_mfma_f32_16x16x32_fp8_fp8 v[120:123], a[144:145], v[44:45], v[120:123]// 0000000131E0: D3F30078 0DE25990
	v_mfma_f32_16x16x32_fp8_fp8 v[116:119], a[130:131], v[46:47], v[116:119]// 0000000131E8: D3F30074 0DD25D82
	v_mfma_f32_16x16x32_fp8_fp8 v[120:123], a[146:147], v[46:47], v[120:123]// 0000000131F0: D3F30078 0DE25D92
	s_waitcnt lgkmcnt(0)                                       // 0000000131F8: BF8CC07F
	v_mfma_f32_16x16x32_fp8_fp8 v[116:119], a[132:133], v[48:49], v[116:119]// 0000000131FC: D3F30074 0DD26184
	v_mfma_f32_16x16x32_fp8_fp8 v[120:123], a[148:149], v[48:49], v[120:123]// 000000013204: D3F30078 0DE26194
	v_mfma_f32_16x16x32_fp8_fp8 v[116:119], a[134:135], v[50:51], v[116:119]// 00000001320C: D3F30074 0DD26586
	v_mfma_f32_16x16x32_fp8_fp8 v[120:123], a[150:151], v[50:51], v[120:123]// 000000013214: D3F30078 0DE26596

000000000001321c <label_4447>:
	v_pk_mul_f32 v[124:125], v[200:201], v[124:125]            // 00000001321C: D3B1407C 1802F9C8
	v_pk_mul_f32 v[126:127], v[200:201], v[126:127]            // 000000013224: D3B1407E 1802FDC8
	v_pk_mul_f32 v[128:129], v[200:201], v[128:129]            // 00000001322C: D3B14080 180301C8
	v_pk_mul_f32 v[130:131], v[200:201], v[130:131]            // 000000013234: D3B14082 180305C8
	v_pk_mul_f32 v[132:133], v[202:203], v[132:133]            // 00000001323C: D3B14084 180309CA
	v_pk_mul_f32 v[134:135], v[202:203], v[134:135]            // 000000013244: D3B14086 18030DCA
	v_pk_mul_f32 v[136:137], v[202:203], v[136:137]            // 00000001324C: D3B14088 180311CA
	v_pk_mul_f32 v[138:139], v[202:203], v[138:139]            // 000000013254: D3B1408A 180315CA
	v_pk_mul_f32 v[140:141], v[204:205], v[140:141]            // 00000001325C: D3B1408C 180319CC
	v_pk_mul_f32 v[142:143], v[204:205], v[142:143]            // 000000013264: D3B1408E 18031DCC
	v_pk_mul_f32 v[144:145], v[204:205], v[144:145]            // 00000001326C: D3B14090 180321CC
	v_pk_mul_f32 v[146:147], v[204:205], v[146:147]            // 000000013274: D3B14092 180325CC
	v_add_f32_dpp v210, v210, v210 row_ror:8 row_mask:0xf bank_mask:0xf// 00000001327C: 03A5A4FA FF0128D2
	ds_bpermute_b32 v172, v212, v206                           // 000000013284: D87E0000 AC00CED4
	ds_bpermute_b32 v173, v213, v206                           // 00000001328C: D87E0000 AD00CED5
	ds_bpermute_b32 v174, v214, v206                           // 000000013294: D87E0000 AE00CED6
	ds_bpermute_b32 v175, v212, v208                           // 00000001329C: D87E0000 AF00D0D4
	ds_bpermute_b32 v176, v213, v208                           // 0000000132A4: D87E0000 B000D0D5
	ds_bpermute_b32 v177, v214, v208                           // 0000000132AC: D87E0000 B100D0D6
	ds_bpermute_b32 v178, v212, v210                           // 0000000132B4: D87E0000 B200D2D4
	ds_bpermute_b32 v179, v213, v210                           // 0000000132BC: D87E0000 B300D2D5
	ds_bpermute_b32 v180, v214, v210                           // 0000000132C4: D87E0000 B400D2D6
	s_waitcnt lgkmcnt(0)                                       // 0000000132CC: BF8CC07F
	v_add_f32_e32 v206, v172, v206                             // 0000000132D0: 039D9DAC
	v_add_f32_e32 v206, v173, v206                             // 0000000132D4: 039D9DAD
	v_add_f32_e32 v206, v174, v206                             // 0000000132D8: 039D9DAE
	v_add_f32_e32 v207, v175, v208                             // 0000000132DC: 039FA1AF
	v_add_f32_e32 v207, v176, v207                             // 0000000132E0: 039F9FB0
	v_add_f32_e32 v207, v177, v207                             // 0000000132E4: 039F9FB1
	v_add_f32_e32 v208, v178, v210                             // 0000000132E8: 03A1A5B2
	v_add_f32_e32 v208, v179, v208                             // 0000000132EC: 03A1A1B3
	v_add_f32_e32 v208, v180, v208                             // 0000000132F0: 03A1A1B4
	ds_write_b128 v246, v[206:209]                             // 0000000132F4: D9BE0000 0000CEF6
	v_pk_mul_f32 v[100:101], v[158:159], v[100:101]            // 0000000132FC: D3B14064 1802C99E
	v_pk_mul_f32 v[102:103], v[158:159], v[102:103]            // 000000013304: D3B14066 1802CD9E
	v_pk_mul_f32 v[104:105], v[158:159], v[104:105]            // 00000001330C: D3B14068 1802D19E
	v_pk_mul_f32 v[106:107], v[158:159], v[106:107]            // 000000013314: D3B1406A 1802D59E
	v_pk_mul_f32 v[108:109], v[160:161], v[108:109]            // 00000001331C: D3B1406C 1802D9A0
	v_pk_mul_f32 v[110:111], v[160:161], v[110:111]            // 000000013324: D3B1406E 1802DDA0
	v_pk_mul_f32 v[112:113], v[160:161], v[112:113]            // 00000001332C: D3B14070 1802E1A0
	v_pk_mul_f32 v[114:115], v[160:161], v[114:115]            // 000000013334: D3B14072 1802E5A0
	v_pk_mul_f32 v[116:117], v[162:163], v[116:117]            // 00000001333C: D3B14074 1802E9A2
	v_pk_mul_f32 v[118:119], v[162:163], v[118:119]            // 000000013344: D3B14076 1802EDA2
	v_pk_mul_f32 v[120:121], v[162:163], v[120:121]            // 00000001334C: D3B14078 1802F1A2
	v_pk_mul_f32 v[122:123], v[162:163], v[122:123]            // 000000013354: D3B1407A 1802F5A2
	s_waitcnt lgkmcnt(0)                                       // 00000001335C: BF8CC07F
	s_barrier                                                  // 000000013360: BF8A0000
	ds_read_b128 v[172:175], v247                              // 000000013364: D9FE0000 AC0000F7
	ds_read_b128 v[176:179], v247 offset:256                   // 00000001336C: D9FE0100 B00000F7
	ds_read_b128 v[180:183], v247 offset:512                   // 000000013374: D9FE0200 B40000F7
	ds_read_b128 v[184:187], v247 offset:768                   // 00000001337C: D9FE0300 B80000F7
	v_pk_add_f32 v[124:125], v[124:125], v[100:101]            // 000000013384: D3B2407C 1802C97C
	v_pk_add_f32 v[126:127], v[126:127], v[102:103]            // 00000001338C: D3B2407E 1802CD7E
	v_pk_add_f32 v[128:129], v[128:129], v[104:105]            // 000000013394: D3B24080 1802D180
	v_pk_add_f32 v[130:131], v[130:131], v[106:107]            // 00000001339C: D3B24082 1802D582
	v_pk_add_f32 v[132:133], v[132:133], v[108:109]            // 0000000133A4: D3B24084 1802D984
	v_pk_add_f32 v[134:135], v[134:135], v[110:111]            // 0000000133AC: D3B24086 1802DD86
	v_pk_add_f32 v[136:137], v[136:137], v[112:113]            // 0000000133B4: D3B24088 1802E188
	v_pk_add_f32 v[138:139], v[138:139], v[114:115]            // 0000000133BC: D3B2408A 1802E58A
	v_pk_add_f32 v[140:141], v[140:141], v[116:117]            // 0000000133C4: D3B2408C 1802E98C
	v_pk_add_f32 v[142:143], v[142:143], v[118:119]            // 0000000133CC: D3B2408E 1802ED8E
	v_pk_add_f32 v[144:145], v[144:145], v[120:121]            // 0000000133D4: D3B24090 1802F190
	v_pk_add_f32 v[146:147], v[146:147], v[122:123]            // 0000000133DC: D3B24092 1802F592
	s_waitcnt lgkmcnt(0)                                       // 0000000133E4: BF8CC07F
	v_mov_b64_e32 v[206:207], 0                                // 0000000133E8: 7F9C7080
	v_mov_b32_e32 v208, 0                                      // 0000000133EC: 7FA00280
	v_add_f32_e32 v206, v172, v206                             // 0000000133F0: 039D9DAC
	v_add_f32_e32 v207, v173, v207                             // 0000000133F4: 039F9FAD
	v_add_f32_e32 v208, v174, v208                             // 0000000133F8: 03A1A1AE
	v_add_f32_e32 v206, v176, v206                             // 0000000133FC: 039D9DB0
	v_add_f32_e32 v207, v177, v207                             // 000000013400: 039F9FB1
	v_add_f32_e32 v208, v178, v208                             // 000000013404: 03A1A1B2
	v_add_f32_e32 v206, v180, v206                             // 000000013408: 039D9DB4
	v_add_f32_e32 v207, v181, v207                             // 00000001340C: 039F9FB5
	v_add_f32_e32 v208, v182, v208                             // 000000013410: 03A1A1B6
	v_add_f32_e32 v206, v184, v206                             // 000000013414: 039D9DB8
	v_add_f32_e32 v207, v185, v207                             // 000000013418: 039F9FB9
	v_add_f32_e32 v208, v186, v208                             // 00000001341C: 03A1A1BA
	v_rcp_f32_e32 v206, v206                                   // 000000013420: 7F9C45CE
	v_rcp_f32_e32 v207, v207                                   // 000000013424: 7F9E45CF
	v_rcp_f32_e32 v208, v208                                   // 000000013428: 7FA045D0
	v_mul_f32_e32 v124, v206, v124                             // 00000001342C: 0AF8F9CE
	v_mul_f32_e32 v125, v206, v125                             // 000000013430: 0AFAFBCE
	v_mul_f32_e32 v126, v206, v126                             // 000000013434: 0AFCFDCE
	v_mul_f32_e32 v127, v206, v127                             // 000000013438: 0AFEFFCE
	v_mul_f32_e32 v128, v206, v128                             // 00000001343C: 0B0101CE
	v_mul_f32_e32 v129, v206, v129                             // 000000013440: 0B0303CE
	v_mul_f32_e32 v130, v206, v130                             // 000000013444: 0B0505CE
	v_mul_f32_e32 v131, v206, v131                             // 000000013448: 0B0707CE
	v_mul_f32_e32 v132, v207, v132                             // 00000001344C: 0B0909CF
	v_mul_f32_e32 v133, v207, v133                             // 000000013450: 0B0B0BCF
	v_mul_f32_e32 v134, v207, v134                             // 000000013454: 0B0D0DCF
	v_mul_f32_e32 v135, v207, v135                             // 000000013458: 0B0F0FCF
	v_mul_f32_e32 v136, v207, v136                             // 00000001345C: 0B1111CF
	v_mul_f32_e32 v137, v207, v137                             // 000000013460: 0B1313CF
	v_mul_f32_e32 v138, v207, v138                             // 000000013464: 0B1515CF
	v_mul_f32_e32 v139, v207, v139                             // 000000013468: 0B1717CF
	v_mul_f32_e32 v140, v208, v140                             // 00000001346C: 0B1919D0
	v_mul_f32_e32 v141, v208, v141                             // 000000013470: 0B1B1BD0
	v_mul_f32_e32 v142, v208, v142                             // 000000013474: 0B1D1DD0
	v_mul_f32_e32 v143, v208, v143                             // 000000013478: 0B1F1FD0
	v_mul_f32_e32 v144, v208, v144                             // 00000001347C: 0B2121D0
	v_mul_f32_e32 v145, v208, v145                             // 000000013480: 0B2323D0
	v_mul_f32_e32 v146, v208, v146                             // 000000013484: 0B2525D0
	v_mul_f32_e32 v147, v208, v147                             // 000000013488: 0B2727D0
	v_cmp_u_f32_e64 s[84:85], v124, v124                       // 00000001348C: D0480054 0002F97C
	v_add3_u32 v215, v124, v218, 1                             // 000000013494: D1FF00D7 0207B57C
	v_cndmask_b32_e64 v168, v215, v217, s[84:85]               // 00000001349C: D10000A8 0153B3D7
	v_cmp_u_f32_e64 s[84:85], v125, v125                       // 0000000134A4: D0480054 0002FB7D
	v_add3_u32 v215, v125, v218, 1                             // 0000000134AC: D1FF00D7 0207B57D
	v_cndmask_b32_e64 v169, v215, v217, s[84:85]               // 0000000134B4: D10000A9 0153B3D7
	v_perm_b32 v124, v169, v168, s42                           // 0000000134BC: D1ED007C 00AB51A9
	v_cmp_u_f32_e64 s[84:85], v126, v126                       // 0000000134C4: D0480054 0002FD7E
	v_add3_u32 v215, v126, v218, 1                             // 0000000134CC: D1FF00D7 0207B57E
	v_cndmask_b32_e64 v168, v215, v217, s[84:85]               // 0000000134D4: D10000A8 0153B3D7
	v_cmp_u_f32_e64 s[84:85], v127, v127                       // 0000000134DC: D0480054 0002FF7F
	v_add3_u32 v215, v127, v218, 1                             // 0000000134E4: D1FF00D7 0207B57F
	v_cndmask_b32_e64 v169, v215, v217, s[84:85]               // 0000000134EC: D10000A9 0153B3D7
	v_perm_b32 v125, v169, v168, s42                           // 0000000134F4: D1ED007D 00AB51A9
	v_cmp_u_f32_e64 s[84:85], v128, v128                       // 0000000134FC: D0480054 00030180
	v_add3_u32 v215, v128, v218, 1                             // 000000013504: D1FF00D7 0207B580
	v_cndmask_b32_e64 v168, v215, v217, s[84:85]               // 00000001350C: D10000A8 0153B3D7
	v_cmp_u_f32_e64 s[84:85], v129, v129                       // 000000013514: D0480054 00030381
	v_add3_u32 v215, v129, v218, 1                             // 00000001351C: D1FF00D7 0207B581
	v_cndmask_b32_e64 v169, v215, v217, s[84:85]               // 000000013524: D10000A9 0153B3D7
	v_perm_b32 v126, v169, v168, s42                           // 00000001352C: D1ED007E 00AB51A9
	v_cmp_u_f32_e64 s[84:85], v130, v130                       // 000000013534: D0480054 00030582
	v_add3_u32 v215, v130, v218, 1                             // 00000001353C: D1FF00D7 0207B582
	v_cndmask_b32_e64 v168, v215, v217, s[84:85]               // 000000013544: D10000A8 0153B3D7
	v_cmp_u_f32_e64 s[84:85], v131, v131                       // 00000001354C: D0480054 00030783
	v_add3_u32 v215, v131, v218, 1                             // 000000013554: D1FF00D7 0207B583
	v_cndmask_b32_e64 v169, v215, v217, s[84:85]               // 00000001355C: D10000A9 0153B3D7
	v_perm_b32 v127, v169, v168, s42                           // 000000013564: D1ED007F 00AB51A9
	v_cmp_u_f32_e64 s[84:85], v132, v132                       // 00000001356C: D0480054 00030984
	v_add3_u32 v215, v132, v218, 1                             // 000000013574: D1FF00D7 0207B584
	v_cndmask_b32_e64 v168, v215, v217, s[84:85]               // 00000001357C: D10000A8 0153B3D7
	v_cmp_u_f32_e64 s[84:85], v133, v133                       // 000000013584: D0480054 00030B85
	v_add3_u32 v215, v133, v218, 1                             // 00000001358C: D1FF00D7 0207B585
	v_cndmask_b32_e64 v169, v215, v217, s[84:85]               // 000000013594: D10000A9 0153B3D7
	v_perm_b32 v128, v169, v168, s42                           // 00000001359C: D1ED0080 00AB51A9
	v_cmp_u_f32_e64 s[84:85], v134, v134                       // 0000000135A4: D0480054 00030D86
	v_add3_u32 v215, v134, v218, 1                             // 0000000135AC: D1FF00D7 0207B586
	v_cndmask_b32_e64 v168, v215, v217, s[84:85]               // 0000000135B4: D10000A8 0153B3D7
	v_cmp_u_f32_e64 s[84:85], v135, v135                       // 0000000135BC: D0480054 00030F87
	v_add3_u32 v215, v135, v218, 1                             // 0000000135C4: D1FF00D7 0207B587
	v_cndmask_b32_e64 v169, v215, v217, s[84:85]               // 0000000135CC: D10000A9 0153B3D7
	v_perm_b32 v129, v169, v168, s42                           // 0000000135D4: D1ED0081 00AB51A9
	v_cmp_u_f32_e64 s[84:85], v136, v136                       // 0000000135DC: D0480054 00031188
	v_add3_u32 v215, v136, v218, 1                             // 0000000135E4: D1FF00D7 0207B588
	v_cndmask_b32_e64 v168, v215, v217, s[84:85]               // 0000000135EC: D10000A8 0153B3D7
	v_cmp_u_f32_e64 s[84:85], v137, v137                       // 0000000135F4: D0480054 00031389
	v_add3_u32 v215, v137, v218, 1                             // 0000000135FC: D1FF00D7 0207B589
	v_cndmask_b32_e64 v169, v215, v217, s[84:85]               // 000000013604: D10000A9 0153B3D7
	v_perm_b32 v130, v169, v168, s42                           // 00000001360C: D1ED0082 00AB51A9
	v_cmp_u_f32_e64 s[84:85], v138, v138                       // 000000013614: D0480054 0003158A
	v_add3_u32 v215, v138, v218, 1                             // 00000001361C: D1FF00D7 0207B58A
	v_cndmask_b32_e64 v168, v215, v217, s[84:85]               // 000000013624: D10000A8 0153B3D7
	v_cmp_u_f32_e64 s[84:85], v139, v139                       // 00000001362C: D0480054 0003178B
	v_add3_u32 v215, v139, v218, 1                             // 000000013634: D1FF00D7 0207B58B
	v_cndmask_b32_e64 v169, v215, v217, s[84:85]               // 00000001363C: D10000A9 0153B3D7
	v_perm_b32 v131, v169, v168, s42                           // 000000013644: D1ED0083 00AB51A9
	v_cmp_u_f32_e64 s[84:85], v140, v140                       // 00000001364C: D0480054 0003198C
	v_add3_u32 v215, v140, v218, 1                             // 000000013654: D1FF00D7 0207B58C
	v_cndmask_b32_e64 v168, v215, v217, s[84:85]               // 00000001365C: D10000A8 0153B3D7
	v_cmp_u_f32_e64 s[84:85], v141, v141                       // 000000013664: D0480054 00031B8D
	v_add3_u32 v215, v141, v218, 1                             // 00000001366C: D1FF00D7 0207B58D
	v_cndmask_b32_e64 v169, v215, v217, s[84:85]               // 000000013674: D10000A9 0153B3D7
	v_perm_b32 v132, v169, v168, s42                           // 00000001367C: D1ED0084 00AB51A9
	v_cmp_u_f32_e64 s[84:85], v142, v142                       // 000000013684: D0480054 00031D8E
	v_add3_u32 v215, v142, v218, 1                             // 00000001368C: D1FF00D7 0207B58E
	v_cndmask_b32_e64 v168, v215, v217, s[84:85]               // 000000013694: D10000A8 0153B3D7
	v_cmp_u_f32_e64 s[84:85], v143, v143                       // 00000001369C: D0480054 00031F8F
	v_add3_u32 v215, v143, v218, 1                             // 0000000136A4: D1FF00D7 0207B58F
	v_cndmask_b32_e64 v169, v215, v217, s[84:85]               // 0000000136AC: D10000A9 0153B3D7
	v_perm_b32 v133, v169, v168, s42                           // 0000000136B4: D1ED0085 00AB51A9
	v_cmp_u_f32_e64 s[84:85], v144, v144                       // 0000000136BC: D0480054 00032190
	v_add3_u32 v215, v144, v218, 1                             // 0000000136C4: D1FF00D7 0207B590
	v_cndmask_b32_e64 v168, v215, v217, s[84:85]               // 0000000136CC: D10000A8 0153B3D7
	v_cmp_u_f32_e64 s[84:85], v145, v145                       // 0000000136D4: D0480054 00032391
	v_add3_u32 v215, v145, v218, 1                             // 0000000136DC: D1FF00D7 0207B591
	v_cndmask_b32_e64 v169, v215, v217, s[84:85]               // 0000000136E4: D10000A9 0153B3D7
	v_perm_b32 v134, v169, v168, s42                           // 0000000136EC: D1ED0086 00AB51A9
	v_cmp_u_f32_e64 s[84:85], v146, v146                       // 0000000136F4: D0480054 00032592
	v_add3_u32 v215, v146, v218, 1                             // 0000000136FC: D1FF00D7 0207B592
	v_cndmask_b32_e64 v168, v215, v217, s[84:85]               // 000000013704: D10000A8 0153B3D7
	v_cmp_u_f32_e64 s[84:85], v147, v147                       // 00000001370C: D0480054 00032793
	v_add3_u32 v215, v147, v218, 1                             // 000000013714: D1FF00D7 0207B593
	v_cndmask_b32_e64 v169, v215, v217, s[84:85]               // 00000001371C: D10000A9 0153B3D7
	v_perm_b32 v135, v169, v168, s42                           // 000000013724: D1ED0087 00AB51A9
	ds_write_b64 v244, v[124:125] offset:8192                  // 00000001372C: D89A2000 00007CF4
	ds_write_b64 v244, v[126:127] offset:10496                 // 000000013734: D89A2900 00007EF4
	ds_write_b64 v244, v[128:129] offset:12800                 // 00000001373C: D89A3200 000080F4
	ds_write_b64 v244, v[130:131] offset:15104                 // 000000013744: D89A3B00 000082F4
	ds_write_b64 v244, v[132:133] offset:17408                 // 00000001374C: D89A4400 000084F4
	ds_write_b64 v244, v[134:135] offset:19712                 // 000000013754: D89A4D00 000086F4
	s_waitcnt lgkmcnt(0)                                       // 00000001375C: BF8CC07F
	s_barrier                                                  // 000000013760: BF8A0000
	ds_read_b128 v[124:127], v245 offset:8192                  // 000000013764: D9FE2000 7C0000F5
	ds_read_b128 v[128:131], v245 offset:12800                 // 00000001376C: D9FE3200 800000F5
	ds_read_b128 v[132:135], v245 offset:17408                 // 000000013774: D9FE4400 840000F5
	s_waitcnt lgkmcnt(2)                                       // 00000001377C: BF8CC27F
	buffer_store_dwordx4 v[124:127], v229, s[4:7], 0 offen     // 000000013780: E07C1000 80017CE5
	s_waitcnt lgkmcnt(1)                                       // 000000013788: BF8CC17F
	buffer_store_dwordx4 v[128:131], v230, s[4:7], 0 offen     // 00000001378C: E07C1000 800180E6
	s_waitcnt lgkmcnt(0)                                       // 000000013794: BF8CC07F
	buffer_store_dwordx4 v[132:135], v231, s[4:7], 0 offen     // 000000013798: E07C1000 800184E7
	s_waitcnt vmcnt(0) expcnt(0) lgkmcnt(0)                    // 0000000137A0: BF8C0000
	s_endpgm                                                   // 0000000137A4: BF810000
